;; amdgpu-corpus repo=ROCm/rocFFT kind=compiled arch=gfx1201 opt=O3
	.text
	.amdgcn_target "amdgcn-amd-amdhsa--gfx1201"
	.amdhsa_code_object_version 6
	.protected	bluestein_single_fwd_len9216_dim1_half_op_CI_CI ; -- Begin function bluestein_single_fwd_len9216_dim1_half_op_CI_CI
	.globl	bluestein_single_fwd_len9216_dim1_half_op_CI_CI
	.p2align	8
	.type	bluestein_single_fwd_len9216_dim1_half_op_CI_CI,@function
bluestein_single_fwd_len9216_dim1_half_op_CI_CI: ; @bluestein_single_fwd_len9216_dim1_half_op_CI_CI
; %bb.0:
	s_load_b128 s[12:15], s[0:1], 0x28
	s_mov_b32 s2, ttmp9
	s_mov_b32 s3, 0
	s_mov_b32 s5, exec_lo
	s_wait_kmcnt 0x0
	v_cmpx_lt_u64_e64 s[2:3], s[12:13]
	s_cbranch_execz .LBB0_39
; %bb.1:
	s_clause 0x1
	s_load_b128 s[4:7], s[0:1], 0x18
	s_load_b64 s[12:13], s[0:1], 0x0
	v_dual_mov_b32 v29, s3 :: v_dual_mov_b32 v28, s2
	s_movk_i32 s2, 0xe700
	s_mov_b32 s3, -1
	v_or_b32_e32 v9, 0x800, v0
	v_mov_b32_e32 v10, 0
	s_wait_kmcnt 0x0
	s_load_b128 s[8:11], s[4:5], 0x0
	s_wait_kmcnt 0x0
	v_mad_co_u64_u32 v[1:2], null, s10, v28, 0
	v_mad_co_u64_u32 v[3:4], null, s8, v0, 0
	s_mul_u64 s[4:5], s[8:9], 0x900
	s_mul_u64 s[2:3], s[8:9], s[2:3]
	s_wait_alu 0xfffe
	s_lshl_b64 s[2:3], s[2:3], 2
	s_delay_alu instid0(VALU_DEP_1) | instskip(SKIP_2) | instid1(VALU_DEP_2)
	v_mad_co_u64_u32 v[5:6], null, s11, v28, v[2:3]
	v_lshlrev_b32_e32 v55, 2, v0
	s_lshl_b64 s[10:11], s[4:5], 2
	v_mov_b32_e32 v2, v5
	v_mad_co_u64_u32 v[6:7], null, s9, v0, v[4:5]
	s_clause 0x5
	global_load_b32 v84, v55, s[12:13]
	global_load_b32 v77, v55, s[12:13] offset:2048
	global_load_b32 v69, v55, s[12:13] offset:4096
	;; [unrolled: 1-line block ×5, first 2 shown]
	v_lshlrev_b64_e32 v[1:2], 2, v[1:2]
	s_clause 0x9
	global_load_b32 v76, v55, s[12:13] offset:11264
	global_load_b32 v67, v55, s[12:13] offset:13312
	;; [unrolled: 1-line block ×10, first 2 shown]
	v_mov_b32_e32 v4, v6
	s_load_b64 s[8:9], s[0:1], 0x38
	v_add_co_u32 v1, vcc_lo, s14, v1
	v_add_co_ci_u32_e32 v2, vcc_lo, s15, v2, vcc_lo
	s_delay_alu instid0(VALU_DEP_3) | instskip(SKIP_3) | instid1(VALU_DEP_3)
	v_lshlrev_b64_e32 v[3:4], 2, v[3:4]
	v_add_co_u32 v26, s14, s12, v55
	s_wait_alu 0xf1ff
	v_add_co_ci_u32_e64 v27, null, s13, 0, s14
	v_add_co_u32 v1, vcc_lo, v1, v3
	s_wait_alu 0xfffd
	v_add_co_ci_u32_e32 v2, vcc_lo, v2, v4, vcc_lo
	global_load_b32 v7, v[1:2], off
	v_add_co_u32 v1, vcc_lo, v1, s10
	s_wait_alu 0xfffd
	v_add_co_ci_u32_e32 v2, vcc_lo, s11, v2, vcc_lo
	s_delay_alu instid0(VALU_DEP_2) | instskip(SKIP_1) | instid1(VALU_DEP_2)
	v_add_co_u32 v3, vcc_lo, v1, s10
	s_wait_alu 0xfffd
	v_add_co_ci_u32_e32 v4, vcc_lo, s11, v2, vcc_lo
	s_clause 0x1
	global_load_b32 v8, v[1:2], off
	global_load_b32 v11, v[3:4], off
	v_add_co_u32 v1, vcc_lo, v3, s10
	s_wait_alu 0xfffd
	v_add_co_ci_u32_e32 v2, vcc_lo, s11, v4, vcc_lo
	s_delay_alu instid0(VALU_DEP_2) | instskip(SKIP_1) | instid1(VALU_DEP_2)
	v_add_co_u32 v3, vcc_lo, v1, s2
	s_wait_alu 0xfffd
	v_add_co_ci_u32_e32 v4, vcc_lo, s3, v2, vcc_lo
	s_clause 0x1
	global_load_b32 v12, v[1:2], off
	global_load_b32 v13, v[3:4], off
	v_add_co_u32 v1, vcc_lo, v3, s10
	s_wait_alu 0xfffd
	v_add_co_ci_u32_e32 v2, vcc_lo, s11, v4, vcc_lo
	s_delay_alu instid0(VALU_DEP_2) | instskip(SKIP_1) | instid1(VALU_DEP_2)
	v_add_co_u32 v3, vcc_lo, v1, s10
	s_wait_alu 0xfffd
	v_add_co_ci_u32_e32 v4, vcc_lo, s11, v2, vcc_lo
	global_load_b32 v14, v[1:2], off
	v_add_co_u32 v1, vcc_lo, v3, s10
	s_wait_alu 0xfffd
	v_add_co_ci_u32_e32 v2, vcc_lo, s11, v4, vcc_lo
	global_load_b32 v15, v[3:4], off
	global_load_b32 v16, v[1:2], off
	v_add_co_u32 v1, vcc_lo, v1, s2
	s_wait_alu 0xfffd
	v_add_co_ci_u32_e32 v2, vcc_lo, s3, v2, vcc_lo
	s_delay_alu instid0(VALU_DEP_2) | instskip(SKIP_1) | instid1(VALU_DEP_2)
	v_add_co_u32 v3, vcc_lo, v1, s10
	s_wait_alu 0xfffd
	v_add_co_ci_u32_e32 v4, vcc_lo, s11, v2, vcc_lo
	global_load_b32 v17, v[1:2], off
	global_load_b32 v18, v[3:4], off
	v_add_co_u32 v1, vcc_lo, v3, s10
	s_wait_alu 0xfffd
	v_add_co_ci_u32_e32 v2, vcc_lo, s11, v4, vcc_lo
	s_delay_alu instid0(VALU_DEP_2) | instskip(SKIP_1) | instid1(VALU_DEP_2)
	v_add_co_u32 v3, vcc_lo, v1, s10
	s_wait_alu 0xfffd
	v_add_co_ci_u32_e32 v4, vcc_lo, s11, v2, vcc_lo
	global_load_b32 v19, v[1:2], off
	v_add_co_u32 v1, vcc_lo, v3, s2
	s_wait_alu 0xfffd
	v_add_co_ci_u32_e32 v2, vcc_lo, s3, v4, vcc_lo
	global_load_b32 v20, v[3:4], off
	;; [unrolled: 4-line block ×5, first 2 shown]
	global_load_b32 v5, v[1:2], off
	s_load_b128 s[4:7], s[6:7], 0x0
	v_cmp_gt_u64_e32 vcc_lo, 0x900, v[9:10]
	s_wait_loadcnt 0x1f
	v_lshrrev_b32_e32 v87, 16, v84
	s_wait_loadcnt 0x1c
	v_lshrrev_b32_e32 v83, 16, v81
	v_lshrrev_b32_e32 v79, 16, v77
	s_wait_loadcnt 0x19
	v_lshrrev_b32_e32 v78, 16, v76
	s_wait_loadcnt 0x16
	v_lshrrev_b32_e32 v86, 16, v85
	v_lshrrev_b32_e32 v75, 16, v73
	s_wait_loadcnt 0x11
	v_lshrrev_b32_e32 v82, 16, v80
	v_lshrrev_b32_e32 v74, 16, v72
	;; [unrolled: 1-line block ×8, first 2 shown]
	s_wait_loadcnt 0x10
	v_lshrrev_b32_e32 v59, 16, v58
	v_lshrrev_b32_e32 v57, 16, v56
	s_wait_loadcnt 0xf
	v_lshrrev_b32_e32 v6, 16, v7
	v_mul_f16_e32 v22, v87, v7
	s_delay_alu instid0(VALU_DEP_2) | instskip(NEXT) | instid1(VALU_DEP_2)
	v_mul_f16_e32 v23, v87, v6
	v_fma_f16 v6, v84, v6, -v22
	s_wait_loadcnt 0xe
	v_lshrrev_b32_e32 v24, 16, v8
	v_mul_f16_e32 v25, v86, v8
	v_fmac_f16_e32 v23, v84, v7
	s_wait_loadcnt 0xd
	v_lshrrev_b32_e32 v22, 16, v11
	v_mul_f16_e32 v7, v86, v24
	v_fma_f16 v24, v85, v24, -v25
	v_mul_f16_e32 v25, v83, v11
	v_pack_b32_f16 v6, v23, v6
	s_delay_alu instid0(VALU_DEP_4) | instskip(SKIP_1) | instid1(VALU_DEP_4)
	v_fmac_f16_e32 v7, v85, v8
	v_mul_f16_e32 v8, v83, v22
	v_fma_f16 v22, v81, v22, -v25
	s_wait_loadcnt 0xc
	v_lshrrev_b32_e32 v23, 16, v12
	v_mul_f16_e32 v25, v82, v12
	v_pack_b32_f16 v7, v7, v24
	v_fmac_f16_e32 v8, v81, v11
	s_wait_loadcnt 0xb
	v_lshrrev_b32_e32 v24, 16, v13
	v_mul_f16_e32 v11, v82, v23
	v_fma_f16 v23, v80, v23, -v25
	v_mul_f16_e32 v25, v79, v13
	v_pack_b32_f16 v8, v8, v22
	s_delay_alu instid0(VALU_DEP_4)
	v_fmac_f16_e32 v11, v80, v12
	v_mul_f16_e32 v12, v79, v24
	s_wait_loadcnt 0xa
	v_lshrrev_b32_e32 v22, 16, v14
	v_fma_f16 v24, v77, v24, -v25
	v_mul_f16_e32 v25, v78, v14
	v_pack_b32_f16 v11, v11, v23
	v_fmac_f16_e32 v12, v77, v13
	v_mul_f16_e32 v13, v78, v22
	s_wait_loadcnt 0x9
	v_lshrrev_b32_e32 v23, 16, v15
	v_mul_f16_e32 v29, v75, v15
	v_fma_f16 v22, v76, v22, -v25
	v_pack_b32_f16 v12, v12, v24
	v_fmac_f16_e32 v13, v76, v14
	v_mul_f16_e32 v14, v75, v23
	s_wait_loadcnt 0x8
	v_lshrrev_b32_e32 v24, 16, v16
	v_fma_f16 v23, v73, v23, -v29
	v_mul_f16_e32 v25, v74, v16
	ds_store_2addr_stride64_b32 v55, v6, v12 offset1:8
	v_pack_b32_f16 v6, v13, v22
	v_fmac_f16_e32 v14, v73, v15
	v_mul_f16_e32 v12, v74, v24
	s_wait_loadcnt 0x7
	v_lshrrev_b32_e32 v15, 16, v17
	v_mul_f16_e32 v22, v71, v17
	v_fma_f16 v13, v72, v24, -v25
	ds_store_2addr_stride64_b32 v55, v7, v6 offset0:36 offset1:44
	v_pack_b32_f16 v6, v14, v23
	v_fmac_f16_e32 v12, v72, v16
	v_mul_f16_e32 v7, v71, v15
	v_fma_f16 v14, v69, v15, -v22
	s_wait_loadcnt 0x6
	v_lshrrev_b32_e32 v15, 16, v18
	v_mul_f16_e32 v16, v70, v18
	ds_store_2addr_stride64_b32 v55, v8, v6 offset0:72 offset1:80
	v_pack_b32_f16 v6, v12, v13
	v_fmac_f16_e32 v7, v69, v17
	v_mul_f16_e32 v8, v70, v15
	s_wait_loadcnt 0x5
	v_lshrrev_b32_e32 v12, 16, v19
	v_mul_f16_e32 v13, v68, v19
	v_fma_f16 v15, v67, v15, -v16
	v_pack_b32_f16 v7, v7, v14
	v_fmac_f16_e32 v8, v67, v18
	v_mul_f16_e32 v14, v68, v12
	v_fma_f16 v12, v65, v12, -v13
	s_wait_loadcnt 0x4
	v_lshrrev_b32_e32 v13, 16, v20
	v_mul_f16_e32 v16, v66, v20
	v_pack_b32_f16 v8, v8, v15
	v_fmac_f16_e32 v14, v65, v19
	s_wait_loadcnt 0x3
	v_lshrrev_b32_e32 v15, 16, v21
	v_mul_f16_e32 v17, v66, v13
	v_fma_f16 v13, v64, v13, -v16
	v_mul_f16_e32 v16, v63, v21
	v_pack_b32_f16 v12, v14, v12
	v_mul_f16_e32 v14, v63, v15
	s_wait_loadcnt 0x2
	v_lshrrev_b32_e32 v18, 16, v3
	s_wait_loadcnt 0x1
	v_lshrrev_b32_e32 v19, 16, v4
	v_fma_f16 v15, v62, v15, -v16
	v_mul_f16_e32 v16, v61, v3
	v_fmac_f16_e32 v14, v62, v21
	s_wait_loadcnt 0x0
	v_lshrrev_b32_e32 v21, 16, v5
	v_fmac_f16_e32 v17, v64, v20
	v_mul_f16_e32 v20, v61, v18
	v_fma_f16 v16, v60, v18, -v16
	v_mul_f16_e32 v18, v59, v4
	v_mul_f16_e32 v22, v59, v19
	;; [unrolled: 1-line block ×4, first 2 shown]
	v_fmac_f16_e32 v20, v60, v3
	v_fma_f16 v3, v58, v19, -v18
	v_fmac_f16_e32 v22, v58, v4
	v_fma_f16 v4, v56, v21, -v23
	v_fmac_f16_e32 v24, v56, v5
	v_pack_b32_f16 v5, v17, v13
	v_pack_b32_f16 v13, v14, v15
	;; [unrolled: 1-line block ×5, first 2 shown]
	ds_store_2addr_stride64_b32 v55, v11, v6 offset0:108 offset1:116
	ds_store_2addr_stride64_b32 v55, v7, v13 offset0:16 offset1:24
	;; [unrolled: 1-line block ×5, first 2 shown]
	s_and_saveexec_b32 s14, vcc_lo
	s_cbranch_execz .LBB0_3
; %bb.2:
	v_add_co_u32 v1, s2, v1, s2
	s_wait_alu 0xf1ff
	v_add_co_ci_u32_e64 v2, s2, s3, v2, s2
	global_load_b32 v8, v[26:27], off offset:8192
	global_load_b32 v7, v[1:2], off
	v_add_co_u32 v1, s2, v1, s10
	s_wait_alu 0xf1ff
	v_add_co_ci_u32_e64 v2, s2, s11, v2, s2
	s_clause 0x2
	global_load_b32 v10, v[26:27], off offset:17408
	global_load_b32 v11, v[26:27], off offset:26624
	;; [unrolled: 1-line block ×3, first 2 shown]
	v_add_co_u32 v3, s2, v1, s10
	s_wait_alu 0xf1ff
	v_add_co_ci_u32_e64 v4, s2, s11, v2, s2
	s_delay_alu instid0(VALU_DEP_2) | instskip(SKIP_1) | instid1(VALU_DEP_2)
	v_add_co_u32 v5, s2, v3, s10
	s_wait_alu 0xf1ff
	v_add_co_ci_u32_e64 v6, s2, s11, v4, s2
	global_load_b32 v1, v[1:2], off
	global_load_b32 v2, v[3:4], off
	;; [unrolled: 1-line block ×3, first 2 shown]
	s_wait_loadcnt 0x7
	v_lshrrev_b32_e32 v4, 16, v8
	s_wait_loadcnt 0x6
	v_lshrrev_b32_e32 v5, 16, v7
	s_delay_alu instid0(VALU_DEP_2)
	v_mul_f16_e32 v6, v4, v7
	s_wait_loadcnt 0x5
	v_lshrrev_b32_e32 v13, 16, v10
	s_wait_loadcnt 0x4
	v_lshrrev_b32_e32 v14, 16, v11
	v_mul_f16_e32 v4, v4, v5
	s_wait_loadcnt 0x3
	v_lshrrev_b32_e32 v15, 16, v12
	v_fma_f16 v5, v8, v5, -v6
	s_delay_alu instid0(VALU_DEP_3)
	v_fmac_f16_e32 v4, v8, v7
	s_wait_loadcnt 0x2
	v_lshrrev_b32_e32 v6, 16, v1
	v_mul_f16_e32 v16, v13, v1
	s_wait_loadcnt 0x1
	v_lshrrev_b32_e32 v7, 16, v2
	s_wait_loadcnt 0x0
	v_lshrrev_b32_e32 v8, 16, v3
	v_mul_f16_e32 v13, v13, v6
	v_fma_f16 v6, v10, v6, -v16
	v_mul_f16_e32 v16, v14, v2
	v_mul_f16_e32 v14, v14, v7
	;; [unrolled: 1-line block ×4, first 2 shown]
	v_fmac_f16_e32 v13, v10, v1
	v_fma_f16 v1, v11, v7, -v16
	v_fmac_f16_e32 v14, v11, v2
	v_fmac_f16_e32 v17, v12, v3
	v_fma_f16 v2, v12, v8, -v15
	v_pack_b32_f16 v3, v4, v5
	v_pack_b32_f16 v4, v13, v6
	;; [unrolled: 1-line block ×3, first 2 shown]
	s_delay_alu instid0(VALU_DEP_4)
	v_pack_b32_f16 v2, v17, v2
	ds_store_2addr_stride64_b32 v55, v3, v4 offset0:32 offset1:68
	ds_store_2addr_stride64_b32 v55, v1, v2 offset0:104 offset1:140
.LBB0_3:
	s_wait_alu 0xfffe
	s_or_b32 exec_lo, exec_lo, s14
	global_wb scope:SCOPE_SE
	s_wait_dscnt 0x0
	s_wait_kmcnt 0x0
	s_barrier_signal -1
	s_barrier_wait -1
	global_inv scope:SCOPE_SE
	ds_load_2addr_stride64_b32 v[16:17], v55 offset1:8
	ds_load_2addr_stride64_b32 v[18:19], v55 offset0:36 offset1:44
	ds_load_2addr_stride64_b32 v[12:13], v55 offset0:72 offset1:80
	;; [unrolled: 1-line block ×7, first 2 shown]
                                        ; implicit-def: $vgpr5
                                        ; implicit-def: $vgpr22
                                        ; implicit-def: $vgpr23
	s_and_saveexec_b32 s2, vcc_lo
	s_cbranch_execz .LBB0_5
; %bb.4:
	ds_load_2addr_stride64_b32 v[5:6], v55 offset0:32 offset1:68
	ds_load_b32 v22, v55 offset:26624
	ds_load_b32 v23, v55 offset:35840
.LBB0_5:
	s_wait_alu 0xfffe
	s_or_b32 exec_lo, exec_lo, s2
	s_wait_dscnt 0x4
	v_pk_add_f16 v21, v19, v21 neg_lo:[0,1] neg_hi:[0,1]
	v_pk_add_f16 v29, v17, v13 neg_lo:[0,1] neg_hi:[0,1]
	s_wait_dscnt 0x1
	v_pk_add_f16 v32, v1, v7 neg_lo:[0,1] neg_hi:[0,1]
	s_wait_dscnt 0x0
	v_pk_add_f16 v10, v3, v10 neg_lo:[0,1] neg_hi:[0,1]
	v_pk_add_f16 v20, v18, v20 neg_lo:[0,1] neg_hi:[0,1]
	v_lshrrev_b32_e32 v13, 16, v21
	v_pk_add_f16 v40, v4, v11 neg_lo:[0,1] neg_hi:[0,1]
	v_pk_add_f16 v12, v16, v12 neg_lo:[0,1] neg_hi:[0,1]
	v_lshrrev_b32_e32 v7, 16, v10
	v_lshrrev_b32_e32 v24, 16, v20
	v_sub_f16_e32 v34, v29, v13
	v_lshrrev_b32_e32 v13, 16, v32
	v_pk_add_f16 v8, v2, v8 neg_lo:[0,1] neg_hi:[0,1]
	v_pk_add_f16 v23, v6, v23 neg_lo:[0,1] neg_hi:[0,1]
	v_lshrrev_b32_e32 v31, 16, v29
	v_sub_f16_e32 v36, v32, v7
	v_add_f16_e32 v38, v13, v10
	v_pk_add_f16 v22, v5, v22 neg_lo:[0,1] neg_hi:[0,1]
	v_lshrrev_b32_e32 v7, 16, v40
	v_lshrrev_b32_e32 v25, 16, v12
	v_sub_f16_e32 v24, v12, v24
	v_fma_f16 v41, v13, 2.0, -v38
	v_lshrrev_b32_e32 v13, 16, v8
	v_lshrrev_b32_e32 v11, 16, v23
	v_add_f16_e32 v35, v31, v21
	v_pk_fma_f16 v5, v5, 2.0, v22 op_sel_hi:[1,0,1] neg_lo:[0,0,1] neg_hi:[0,0,1]
	v_pk_fma_f16 v6, v6, 2.0, v23 op_sel_hi:[1,0,1] neg_lo:[0,0,1] neg_hi:[0,0,1]
	v_sub_f16_e32 v42, v8, v7
	v_add_f16_e32 v30, v25, v20
	v_fma_f16 v33, v12, 2.0, -v24
	v_lshrrev_b32_e32 v45, 16, v22
	v_pk_fma_f16 v12, v16, 2.0, v12 op_sel_hi:[1,0,1] neg_lo:[0,0,1] neg_hi:[0,0,1]
	v_pk_fma_f16 v16, v18, 2.0, v20 op_sel_hi:[1,0,1] neg_lo:[0,0,1] neg_hi:[0,0,1]
	v_add_f16_e32 v43, v13, v40
	v_sub_f16_e32 v11, v22, v11
	v_pk_fma_f16 v20, v17, 2.0, v29 op_sel_hi:[1,0,1] neg_lo:[0,0,1] neg_hi:[0,0,1]
	v_pk_fma_f16 v17, v19, 2.0, v21 op_sel_hi:[1,0,1] neg_lo:[0,0,1] neg_hi:[0,0,1]
	v_pk_fma_f16 v1, v1, 2.0, v32 op_sel_hi:[1,0,1] neg_lo:[0,0,1] neg_hi:[0,0,1]
	v_pk_fma_f16 v3, v3, 2.0, v10 op_sel_hi:[1,0,1] neg_lo:[0,0,1] neg_hi:[0,0,1]
	v_fma_f16 v37, v29, 2.0, -v34
	v_fma_f16 v31, v31, 2.0, -v35
	v_pk_add_f16 v7, v5, v6 neg_lo:[0,1] neg_hi:[0,1]
	v_fma_f16 v6, v8, 2.0, -v42
	v_pk_fma_f16 v8, v2, 2.0, v8 op_sel_hi:[1,0,1] neg_lo:[0,0,1] neg_hi:[0,0,1]
	v_pk_fma_f16 v2, v4, 2.0, v40 op_sel_hi:[1,0,1] neg_lo:[0,0,1] neg_hi:[0,0,1]
	v_or_b32_e32 v46, 0x200, v0
	v_or_b32_e32 v14, 0x400, v0
	v_fma_f16 v25, v25, 2.0, -v30
	v_add_f16_e32 v44, v23, v45
	v_pk_add_f16 v18, v12, v16 neg_lo:[0,1] neg_hi:[0,1]
	v_fma_f16 v47, v13, 2.0, -v43
	v_fma_f16 v13, v22, 2.0, -v11
	v_pk_add_f16 v22, v20, v17 neg_lo:[0,1] neg_hi:[0,1]
	v_fma_f16 v39, v32, 2.0, -v36
	v_pk_add_f16 v3, v1, v3 neg_lo:[0,1] neg_hi:[0,1]
	v_pack_b32_f16 v21, v37, v31
	v_pk_add_f16 v31, v8, v2 neg_lo:[0,1] neg_hi:[0,1]
	v_dual_mov_b32 v15, 0 :: v_dual_lshlrev_b32 v94, 4, v0
	v_pk_fma_f16 v5, v5, 2.0, v7 op_sel_hi:[1,0,1] neg_lo:[0,0,1] neg_hi:[0,0,1]
	v_fma_f16 v45, v45, 2.0, -v44
	v_pk_fma_f16 v16, v12, 2.0, v18 op_sel_hi:[1,0,1] neg_lo:[0,0,1] neg_hi:[0,0,1]
	v_pack_b32_f16 v19, v24, v30
	v_pack_b32_f16 v17, v33, v25
	v_lshlrev_b32_e32 v95, 4, v46
	v_lshlrev_b32_e32 v97, 4, v14
	;; [unrolled: 1-line block ×3, first 2 shown]
	v_pk_fma_f16 v20, v20, 2.0, v22 op_sel_hi:[1,0,1] neg_lo:[0,0,1] neg_hi:[0,0,1]
	v_pack_b32_f16 v23, v34, v35
	v_pk_fma_f16 v1, v1, 2.0, v3 op_sel_hi:[1,0,1] neg_lo:[0,0,1] neg_hi:[0,0,1]
	v_pack_b32_f16 v4, v36, v38
	v_pack_b32_f16 v2, v39, v41
	v_lshlrev_b32_e32 v10, 2, v55
	v_pk_fma_f16 v29, v8, 2.0, v31 op_sel_hi:[1,0,1] neg_lo:[0,0,1] neg_hi:[0,0,1]
	v_pack_b32_f16 v32, v42, v43
	v_pack_b32_f16 v30, v6, v47
	global_wb scope:SCOPE_SE
	s_barrier_signal -1
	s_barrier_wait -1
	global_inv scope:SCOPE_SE
	ds_store_b128 v94, v[16:19]
	ds_store_b128 v95, v[20:23]
	;; [unrolled: 1-line block ×3, first 2 shown]
	ds_store_b128 v10, v[29:32] offset:24576
	s_and_saveexec_b32 s2, vcc_lo
	s_cbranch_execz .LBB0_7
; %bb.6:
	v_perm_b32 v8, v44, v11, 0x5040100
	v_perm_b32 v6, v45, v13, 0x5040100
	ds_store_b128 v96, v[5:8]
.LBB0_7:
	s_wait_alu 0xfffe
	s_or_b32 exec_lo, exec_lo, s2
	global_wb scope:SCOPE_SE
	s_wait_dscnt 0x0
	s_barrier_signal -1
	s_barrier_wait -1
	global_inv scope:SCOPE_SE
	ds_load_2addr_stride64_b32 v[20:21], v55 offset1:8
	ds_load_2addr_stride64_b32 v[37:38], v55 offset0:18 offset1:26
	ds_load_2addr_stride64_b32 v[35:36], v55 offset0:36 offset1:44
	;; [unrolled: 1-line block ×7, first 2 shown]
	s_load_b64 s[2:3], s[0:1], 0x8
	v_cmp_gt_u64_e64 s0, 0x480, v[14:15]
                                        ; implicit-def: $vgpr16
                                        ; implicit-def: $vgpr6
                                        ; implicit-def: $vgpr8
                                        ; implicit-def: $vgpr40
                                        ; implicit-def: $vgpr47
                                        ; implicit-def: $vgpr48
	s_delay_alu instid0(VALU_DEP_1)
	s_and_saveexec_b32 s1, s0
	s_cbranch_execz .LBB0_9
; %bb.8:
	ds_load_2addr_stride64_b32 v[12:13], v55 offset0:16 offset1:34
	ds_load_2addr_stride64_b32 v[10:11], v55 offset0:52 offset1:70
	;; [unrolled: 1-line block ×4, first 2 shown]
	s_wait_dscnt 0x3
	v_lshrrev_b32_e32 v45, 16, v13
	s_wait_dscnt 0x2
	v_lshrrev_b32_e32 v44, 16, v11
	;; [unrolled: 2-line block ×3, first 2 shown]
	v_lshrrev_b32_e32 v47, 16, v40
	s_wait_dscnt 0x0
	v_lshrrev_b32_e32 v8, 16, v15
	v_lshrrev_b32_e32 v6, 16, v16
	v_mov_b32_e32 v7, v10
	v_mov_b32_e32 v5, v12
.LBB0_9:
	s_or_b32 exec_lo, exec_lo, s1
	v_and_b32_e32 v88, 3, v0
	v_lshlrev_b32_e32 v42, 2, v46
	v_lshlrev_b32_e32 v43, 3, v0
	;; [unrolled: 1-line block ×3, first 2 shown]
	s_wait_dscnt 0x6
	v_lshrrev_b32_e32 v12, 16, v37
	s_wait_kmcnt 0x0
	v_mad_co_u64_u32 v[17:18], null, v88, 28, s[2:3]
	s_wait_dscnt 0x5
	v_lshrrev_b32_e32 v49, 16, v35
	s_wait_dscnt 0x4
	v_lshrrev_b32_e32 v50, 16, v33
	;; [unrolled: 2-line block ×6, first 2 shown]
	s_clause 0x1
	global_load_b128 v[1:4], v[17:18], off
	global_load_b96 v[17:19], v[17:18], off offset:16
	v_and_or_b32 v91, 0xfe0, v43, v88
	v_and_or_b32 v46, 0x1fe0, v46, v88
	v_lshrrev_b32_e32 v93, 16, v38
	v_lshrrev_b32_e32 v98, 16, v36
	;; [unrolled: 1-line block ×8, first 2 shown]
	v_lshlrev_b32_e32 v41, 2, v14
	v_lshlrev_b32_e32 v90, 3, v14
	;; [unrolled: 1-line block ×4, first 2 shown]
	v_lshrrev_b32_e32 v10, 16, v20
	v_lshrrev_b32_e32 v89, 16, v21
	;; [unrolled: 1-line block ×3, first 2 shown]
	v_or_b32_e32 v121, 0x1800, v55
	global_wb scope:SCOPE_SE
	s_wait_loadcnt 0x0
	s_barrier_signal -1
	s_barrier_wait -1
	global_inv scope:SCOPE_SE
	v_lshrrev_b32_e32 v109, 16, v1
	v_lshrrev_b32_e32 v108, 16, v2
	;; [unrolled: 1-line block ×7, first 2 shown]
	v_mul_f16_e32 v14, v12, v109
	v_mul_f16_e32 v46, v37, v109
	;; [unrolled: 1-line block ×16, first 2 shown]
	v_mul_f16_e64 v128, v98, v108
	v_mul_f16_e64 v129, v36, v108
	v_mul_f16_e64 v130, v100, v107
	v_mul_f16_e64 v131, v34, v107
	v_mul_f16_e64 v132, v101, v106
	v_mul_f16_e64 v133, v32, v106
	v_mul_f16_e64 v134, v102, v105
	v_mul_f16_e64 v135, v30, v105
	v_mul_f16_e64 v136, v103, v104
	v_mul_f16_e64 v137, v25, v104
	v_mul_f16_e64 v138, v110, v99
	v_mul_f16_e64 v139, v23, v99
	v_mul_f16_e64 v140, v45, v109
	v_mul_f16_e64 v141, v13, v109
	v_mul_f16_e64 v142, v111, v108
	v_mul_f16_e64 v143, v7, v108
	v_mul_f16_e64 v144, v44, v107
	v_mul_f16_e64 v145, v11, v107
	v_mul_f16_e64 v146, v48, v106
	v_mul_f16_e64 v147, v39, v106
	v_mul_f16_e64 v148, v47, v105
	v_mul_f16_e64 v149, v40, v105
	v_mul_f16_e64 v150, v8, v104
	v_mul_f16_e64 v151, v15, v104
	v_mul_f16_e64 v152, v6, v99
	v_mul_f16_e64 v153, v16, v99
	v_fmac_f16_e32 v46, v12, v1
	v_fmac_f16_e32 v114, v49, v2
	v_fma_f16 v12, v37, v1, -v14
	v_fma_f16 v14, v35, v2, -v113
	;; [unrolled: 1-line block ×3, first 2 shown]
	v_fmac_f16_e32 v116, v50, v3
	v_fma_f16 v31, v31, v4, -v117
	v_fmac_f16_e32 v118, v51, v4
	v_fma_f16 v29, v29, v17, -v119
	;; [unrolled: 2-line block ×6, first 2 shown]
	v_fmac_f16_e64 v129, v98, v2
	v_fma_f16 v34, v34, v3, -v130
	v_fmac_f16_e64 v131, v100, v3
	v_fma_f16 v32, v32, v4, -v132
	v_fmac_f16_e64 v133, v101, v4
	v_fma_f16 v30, v30, v17, -v134
	v_fmac_f16_e64 v135, v102, v17
	v_fma_f16 v25, v25, v18, -v136
	v_fmac_f16_e64 v137, v103, v18
	v_fma_f16 v23, v23, v19, -v138
	v_fmac_f16_e64 v139, v110, v19
	v_fma_f16 v13, v13, v1, -v140
	v_fmac_f16_e64 v141, v45, v1
	v_fma_f16 v7, v7, v2, -v142
	v_fmac_f16_e64 v143, v111, v2
	v_fma_f16 v11, v11, v3, -v144
	v_fmac_f16_e64 v145, v44, v3
	v_fma_f16 v37, v39, v4, -v146
	v_fmac_f16_e64 v147, v48, v4
	v_fma_f16 v38, v40, v17, -v148
	v_fmac_f16_e64 v149, v47, v17
	v_fma_f16 v15, v15, v18, -v150
	v_fmac_f16_e64 v151, v8, v18
	v_fma_f16 v8, v16, v19, -v152
	v_fmac_f16_e64 v153, v6, v19
	v_sub_f16_e32 v6, v20, v31
	v_sub_f16_e32 v16, v10, v118
	;; [unrolled: 1-line block ×9, first 2 shown]
	v_sub_f16_e64 v44, v89, v133
	v_sub_f16_e32 v25, v36, v25
	v_sub_f16_e64 v45, v129, v137
	v_sub_f16_e32 v30, v35, v30
	;; [unrolled: 2-line block ×7, first 2 shown]
	v_sub_f16_e64 v52, v145, v153
	v_fma_f16 v20, v20, 2.0, -v6
	v_fma_f16 v10, v10, 2.0, -v16
	v_fma_f16 v14, v14, 2.0, -v24
	v_fma_f16 v53, v114, 2.0, -v31
	v_fma_f16 v12, v12, 2.0, -v29
	v_fma_f16 v46, v46, 2.0, -v39
	v_fma_f16 v33, v33, 2.0, -v22
	v_fma_f16 v54, v116, 2.0, -v40
	v_sub_f16_e32 v93, v6, v31
	v_add_f16_e32 v24, v16, v24
	v_sub_f16_e32 v31, v29, v40
	v_add_f16_e32 v22, v39, v22
	v_fma_f16 v21, v21, 2.0, -v32
	v_fma_f16 v40, v89, 2.0, -v44
	v_fma_f16 v36, v36, 2.0, -v25
	v_fma_f16 v89, v129, 2.0, -v45
	v_fma_f16 v35, v35, 2.0, -v30
	v_fma_f16 v98, v127, 2.0, -v47
	v_fma_f16 v34, v34, 2.0, -v23
	v_fma_f16 v100, v131, 2.0, -v48
	v_sub_f16_e32 v45, v32, v45
	v_add_f16_e32 v25, v44, v25
	v_sub_f16_e32 v48, v30, v48
	v_add_f16_e32 v23, v47, v23
	;; [unrolled: 12-line block ×3, first 2 shown]
	v_sub_f16_e32 v14, v20, v14
	v_sub_f16_e32 v53, v10, v53
	v_fma_f16 v6, v6, 2.0, -v93
	v_fma_f16 v16, v16, 2.0, -v24
	v_sub_f16_e32 v33, v12, v33
	v_sub_f16_e32 v54, v46, v54
	v_fma_f16 v29, v29, 2.0, -v31
	v_fma_f16 v39, v39, 2.0, -v22
	v_fmamk_f16 v111, v31, 0x39a8, v93
	v_fmamk_f16 v112, v22, 0x39a8, v24
	v_sub_f16_e32 v36, v21, v36
	v_sub_f16_e32 v89, v40, v89
	v_fma_f16 v113, v32, 2.0, -v45
	v_fma_f16 v114, v44, 2.0, -v25
	v_sub_f16_e32 v34, v35, v34
	v_sub_f16_e32 v44, v98, v100
	v_fma_f16 v30, v30, 2.0, -v48
	v_fma_f16 v47, v47, 2.0, -v23
	v_fmamk_f16 v100, v48, 0x39a8, v45
	v_sub_f16_e32 v7, v5, v7
	v_sub_f16_e32 v102, v101, v102
	v_fma_f16 v37, v37, 2.0, -v50
	v_fma_f16 v49, v49, 2.0, -v15
	v_sub_f16_e32 v11, v13, v11
	v_sub_f16_e32 v110, v103, v110
	v_fma_f16 v38, v38, 2.0, -v52
	v_fma_f16 v51, v51, 2.0, -v8
	v_fmamk_f16 v115, v23, 0x39a8, v25
	v_fmamk_f16 v32, v52, 0x39a8, v50
	v_fma_f16 v20, v20, 2.0, -v14
	v_fma_f16 v10, v10, 2.0, -v53
	;; [unrolled: 1-line block ×4, first 2 shown]
	v_fmamk_f16 v116, v29, 0xb9a8, v6
	v_fmamk_f16 v117, v39, 0xb9a8, v16
	v_sub_f16_e32 v54, v14, v54
	v_add_f16_e32 v118, v53, v33
	v_fmac_f16_e32 v111, 0xb9a8, v22
	v_fmac_f16_e32 v112, 0x39a8, v31
	v_fma_f16 v21, v21, 2.0, -v36
	v_fma_f16 v119, v40, 2.0, -v89
	v_fma_f16 v22, v35, 2.0, -v34
	v_fma_f16 v33, v98, 2.0, -v44
	v_fmamk_f16 v35, v30, 0xb9a8, v113
	v_fmamk_f16 v98, v47, 0xb9a8, v114
	v_fmamk_f16 v120, v8, 0x39a8, v15
	v_add_f16_e32 v126, v89, v34
	v_fmac_f16_e32 v100, 0xb9a8, v23
	v_fma_f16 v5, v5, 2.0, -v7
	v_fma_f16 v23, v101, 2.0, -v102
	;; [unrolled: 1-line block ×4, first 2 shown]
	v_fmamk_f16 v34, v38, 0xb9a8, v37
	v_fmamk_f16 v123, v51, 0xb9a8, v49
	v_sub_f16_e32 v125, v36, v44
	v_fmac_f16_e32 v115, 0x39a8, v48
	v_sub_f16_e32 v31, v7, v110
	v_add_f16_e32 v122, v102, v11
	v_fmac_f16_e32 v32, 0xb9a8, v8
	v_sub_f16_e32 v8, v20, v12
	v_sub_f16_e32 v11, v10, v46
	v_fmac_f16_e32 v116, 0xb9a8, v39
	v_fmac_f16_e32 v117, 0x39a8, v29
	v_fma_f16 v12, v14, 2.0, -v54
	v_fma_f16 v14, v53, 2.0, -v118
	;; [unrolled: 1-line block ×4, first 2 shown]
	v_sub_f16_e32 v46, v21, v22
	v_sub_f16_e32 v48, v119, v33
	v_fmac_f16_e32 v35, 0xb9a8, v47
	v_fmac_f16_e32 v98, 0x39a8, v30
	;; [unrolled: 1-line block ×3, first 2 shown]
	v_sub_f16_e32 v33, v5, v13
	v_sub_f16_e32 v124, v23, v40
	v_fmac_f16_e32 v34, 0xb9a8, v51
	v_fmac_f16_e32 v123, 0x39a8, v38
	v_fma_f16 v30, v36, 2.0, -v125
	v_fma_f16 v36, v89, 2.0, -v126
	;; [unrolled: 1-line block ×5, first 2 shown]
	v_pack_b32_f16 v7, v54, v118
	v_pack_b32_f16 v13, v111, v112
	v_fma_f16 v39, v50, 2.0, -v32
	v_fma_f16 v20, v20, 2.0, -v8
	;; [unrolled: 1-line block ×9, first 2 shown]
	v_pack_b32_f16 v12, v12, v14
	v_pack_b32_f16 v14, v29, v24
	v_fma_f16 v40, v102, 2.0, -v122
	v_fma_f16 v44, v15, 2.0, -v120
	;; [unrolled: 1-line block ×6, first 2 shown]
	v_pack_b32_f16 v8, v8, v11
	v_pack_b32_f16 v11, v116, v117
	ds_store_2addr_b32 v92, v7, v13 offset0:24 offset1:28
	v_pack_b32_f16 v7, v30, v36
	v_pack_b32_f16 v13, v47, v25
	v_pack_b32_f16 v23, v46, v48
	v_pack_b32_f16 v24, v35, v98
	v_pack_b32_f16 v10, v20, v10
	v_pack_b32_f16 v20, v50, v51
	ds_store_2addr_b32 v92, v12, v14 offset0:8 offset1:12
	v_pack_b32_f16 v12, v21, v52
	v_pack_b32_f16 v14, v53, v54
	;; [unrolled: 1-line block ×4, first 2 shown]
	ds_store_2addr_b32 v92, v8, v11 offset0:16 offset1:20
	ds_store_2addr_b32 v91, v7, v13 offset0:8 offset1:12
	;; [unrolled: 1-line block ×3, first 2 shown]
	ds_store_2addr_b32 v92, v10, v20 offset1:4
	ds_store_2addr_b32 v91, v12, v14 offset1:4
	ds_store_2addr_b32 v91, v15, v38 offset0:24 offset1:28
	s_and_saveexec_b32 s1, s0
	s_cbranch_execz .LBB0_11
; %bb.10:
	v_and_or_b32 v7, 0x2fe0, v90, v88
	v_perm_b32 v8, v16, v5, 0x5040100
	v_perm_b32 v10, v45, v6, 0x5040100
	;; [unrolled: 1-line block ×4, first 2 shown]
	v_lshlrev_b32_e32 v7, 2, v7
	v_perm_b32 v13, v124, v33, 0x5040100
	v_perm_b32 v14, v123, v34, 0x5040100
	;; [unrolled: 1-line block ×4, first 2 shown]
	ds_store_2addr_b32 v7, v8, v10 offset1:4
	ds_store_2addr_b32 v7, v11, v12 offset0:8 offset1:12
	ds_store_2addr_b32 v7, v13, v14 offset0:16 offset1:20
	;; [unrolled: 1-line block ×3, first 2 shown]
.LBB0_11:
	s_or_b32 exec_lo, exec_lo, s1
	global_wb scope:SCOPE_SE
	s_wait_dscnt 0x0
	s_barrier_signal -1
	s_barrier_wait -1
	global_inv scope:SCOPE_SE
	ds_load_2addr_stride64_b32 v[10:11], v55 offset1:8
	ds_load_2addr_stride64_b32 v[37:38], v55 offset0:36 offset1:44
	ds_load_2addr_stride64_b32 v[35:36], v55 offset0:72 offset1:80
	;; [unrolled: 1-line block ×7, first 2 shown]
	s_and_saveexec_b32 s1, vcc_lo
	s_cbranch_execz .LBB0_13
; %bb.12:
	ds_load_2addr_stride64_b32 v[5:6], v55 offset0:32 offset1:68
	ds_load_b32 v22, v55 offset:26624
	ds_load_b32 v39, v55 offset:35840
	s_wait_dscnt 0x2
	v_lshrrev_b32_e32 v16, 16, v5
	v_lshrrev_b32_e32 v45, 16, v6
	s_wait_dscnt 0x1
	v_lshrrev_b32_e32 v40, 16, v22
	s_wait_dscnt 0x0
	v_lshrrev_b32_e32 v44, 16, v39
.LBB0_13:
	s_or_b32 exec_lo, exec_lo, s1
	v_and_b32_e32 v93, 31, v0
	s_wait_dscnt 0x6
	v_lshrrev_b32_e32 v47, 16, v37
	s_wait_dscnt 0x5
	v_lshrrev_b32_e32 v48, 16, v35
	;; [unrolled: 2-line block ×3, first 2 shown]
	v_lshrrev_b32_e32 v51, 16, v38
	v_mad_co_u64_u32 v[23:24], null, v93, 12, s[2:3]
	v_and_or_b32 v100, 0x780, v55, v93
	v_and_or_b32 v101, 0xf80, v42, v93
	;; [unrolled: 1-line block ×4, first 2 shown]
	v_lshrrev_b32_e32 v52, 16, v36
	v_lshlrev_b32_e32 v103, 2, v100
	global_load_b96 v[23:25], v[23:24], off offset:112
	v_lshlrev_b32_e32 v102, 2, v101
	v_lshlrev_b32_e32 v101, 2, v113
	v_lshlrev_b32_e32 v100, 2, v117
	v_lshrrev_b32_e32 v53, 16, v30
	s_wait_dscnt 0x2
	v_lshrrev_b32_e32 v98, 16, v20
	s_wait_dscnt 0x1
	;; [unrolled: 2-line block ×3, first 2 shown]
	v_lshrrev_b32_e32 v111, 16, v12
	v_lshrrev_b32_e32 v114, 16, v21
	;; [unrolled: 1-line block ×4, first 2 shown]
	v_lshlrev_b32_e32 v89, 2, v9
	v_lshrrev_b32_e32 v46, 16, v10
	v_lshrrev_b32_e32 v50, 16, v11
	;; [unrolled: 1-line block ×4, first 2 shown]
	global_wb scope:SCOPE_SE
	s_wait_loadcnt 0x0
	s_barrier_signal -1
	s_barrier_wait -1
	global_inv scope:SCOPE_SE
	v_lshrrev_b32_e32 v118, 16, v23
	v_lshrrev_b32_e32 v117, 16, v24
	;; [unrolled: 1-line block ×3, first 2 shown]
	s_delay_alu instid0(VALU_DEP_3) | instskip(SKIP_1) | instid1(VALU_DEP_4)
	v_mul_f16_e32 v9, v47, v118
	v_mul_f16_e32 v119, v37, v118
	;; [unrolled: 1-line block ×5, first 2 shown]
	v_mul_f16_e64 v128, v29, v113
	v_mul_f16_e64 v129, v51, v118
	;; [unrolled: 1-line block ×25, first 2 shown]
	v_fma_f16 v9, v37, v23, -v9
	v_fmac_f16_e32 v119, v47, v23
	v_fma_f16 v35, v35, v24, -v125
	v_fmac_f16_e32 v126, v48, v24
	v_fma_f16 v29, v29, v25, -v127
	v_fmac_f16_e64 v128, v49, v25
	v_fma_f16 v37, v38, v23, -v129
	v_fmac_f16_e64 v130, v51, v23
	v_fma_f16 v36, v36, v24, -v131
	v_fmac_f16_e64 v132, v52, v24
	v_fma_f16 v30, v30, v25, -v133
	v_fmac_f16_e64 v134, v53, v25
	v_fma_f16 v20, v20, v23, -v135
	v_fmac_f16_e64 v136, v98, v23
	v_fma_f16 v14, v14, v24, -v137
	v_fmac_f16_e64 v138, v110, v24
	v_fma_f16 v12, v12, v25, -v139
	v_fmac_f16_e64 v140, v111, v25
	v_fma_f16 v21, v21, v23, -v141
	v_fmac_f16_e64 v142, v114, v23
	v_fma_f16 v15, v15, v24, -v143
	v_fmac_f16_e64 v144, v115, v24
	v_fma_f16 v13, v13, v25, -v145
	v_fmac_f16_e64 v146, v116, v25
	v_fma_f16 v6, v6, v23, -v147
	v_fmac_f16_e64 v148, v45, v23
	v_fma_f16 v22, v22, v24, -v149
	v_fmac_f16_e64 v150, v40, v24
	v_fma_f16 v38, v39, v25, -v151
	v_fmac_f16_e64 v152, v44, v25
	v_sub_f16_e32 v35, v10, v35
	v_sub_f16_e32 v39, v46, v126
	;; [unrolled: 1-line block ×3, first 2 shown]
	v_sub_f16_e64 v40, v119, v128
	v_sub_f16_e32 v36, v11, v36
	v_sub_f16_e64 v45, v50, v132
	v_sub_f16_e32 v30, v37, v30
	;; [unrolled: 2-line block ×8, first 2 shown]
	v_sub_f16_e64 v53, v148, v152
	v_fma_f16 v10, v10, 2.0, -v35
	v_fma_f16 v98, v46, 2.0, -v39
	;; [unrolled: 1-line block ×16, first 2 shown]
	v_sub_f16_e32 v110, v35, v40
	v_add_f16_e32 v29, v39, v29
	v_sub_f16_e32 v114, v36, v44
	v_add_f16_e32 v30, v45, v30
	v_fma_f16 v5, v5, 2.0, -v22
	v_fma_f16 v16, v16, 2.0, -v52
	;; [unrolled: 1-line block ×4, first 2 shown]
	v_sub_f16_e32 v40, v22, v53
	v_add_f16_e32 v44, v52, v38
	v_sub_f16_e32 v9, v10, v9
	v_sub_f16_e32 v38, v98, v46
	;; [unrolled: 1-line block ×3, first 2 shown]
	v_add_f16_e32 v12, v47, v12
	v_sub_f16_e32 v37, v11, v37
	v_sub_f16_e32 v111, v50, v111
	;; [unrolled: 1-line block ×5, first 2 shown]
	v_add_f16_e32 v13, v49, v13
	v_sub_f16_e32 v21, v8, v21
	v_sub_f16_e32 v116, v112, v116
	v_fma_f16 v35, v35, 2.0, -v110
	v_fma_f16 v53, v39, 2.0, -v29
	;; [unrolled: 1-line block ×4, first 2 shown]
	v_sub_f16_e32 v45, v5, v6
	v_sub_f16_e32 v46, v16, v119
	v_fma_f16 v6, v22, 2.0, -v40
	v_pack_b32_f16 v22, v110, v29
	v_pack_b32_f16 v29, v114, v30
	v_fma_f16 v10, v10, 2.0, -v9
	v_fma_f16 v30, v98, 2.0, -v38
	;; [unrolled: 1-line block ×4, first 2 shown]
	v_pack_b32_f16 v12, v48, v12
	v_fma_f16 v11, v11, 2.0, -v37
	v_fma_f16 v48, v50, 2.0, -v111
	v_pack_b32_f16 v9, v9, v38
	v_fma_f16 v7, v7, 2.0, -v20
	v_fma_f16 v50, v54, 2.0, -v115
	;; [unrolled: 1-line block ×4, first 2 shown]
	v_pack_b32_f16 v13, v51, v13
	v_fma_f16 v8, v8, 2.0, -v21
	v_fma_f16 v51, v112, 2.0, -v116
	;; [unrolled: 1-line block ×5, first 2 shown]
	v_pack_b32_f16 v16, v35, v53
	v_pack_b32_f16 v35, v36, v125
	v_pack_b32_f16 v36, v37, v111
	v_pack_b32_f16 v20, v20, v115
	v_pack_b32_f16 v10, v10, v30
	ds_store_2addr_b32 v103, v9, v22 offset0:64 offset1:96
	v_pack_b32_f16 v9, v11, v48
	v_pack_b32_f16 v14, v14, v126
	;; [unrolled: 1-line block ×6, first 2 shown]
	ds_store_2addr_b32 v102, v36, v29 offset0:64 offset1:96
	ds_store_2addr_b32 v101, v20, v12 offset0:64 offset1:96
	ds_store_2addr_b32 v103, v10, v16 offset1:32
	ds_store_2addr_b32 v102, v9, v35 offset1:32
	;; [unrolled: 1-line block ×4, first 2 shown]
	ds_store_2addr_b32 v100, v21, v13 offset0:64 offset1:96
	s_and_saveexec_b32 s1, vcc_lo
	s_cbranch_execz .LBB0_15
; %bb.14:
	v_and_or_b32 v7, 0x2780, v89, v93
	v_perm_b32 v8, v39, v5, 0x5040100
	v_perm_b32 v9, v47, v6, 0x5040100
	;; [unrolled: 1-line block ×4, first 2 shown]
	v_lshlrev_b32_e32 v7, 2, v7
	ds_store_2addr_b32 v7, v8, v9 offset1:32
	ds_store_2addr_b32 v7, v10, v11 offset0:64 offset1:96
.LBB0_15:
	s_or_b32 exec_lo, exec_lo, s1
	global_wb scope:SCOPE_SE
	s_wait_dscnt 0x0
	s_barrier_signal -1
	s_barrier_wait -1
	global_inv scope:SCOPE_SE
	ds_load_2addr_stride64_b32 v[9:10], v55 offset1:8
	ds_load_2addr_stride64_b32 v[37:38], v55 offset0:36 offset1:44
	ds_load_2addr_stride64_b32 v[35:36], v55 offset0:72 offset1:80
	ds_load_2addr_stride64_b32 v[29:30], v55 offset0:108 offset1:116
	ds_load_2addr_stride64_b32 v[7:8], v55 offset0:16 offset1:24
	ds_load_2addr_stride64_b32 v[15:16], v55 offset0:52 offset1:60
	ds_load_2addr_stride64_b32 v[13:14], v55 offset0:88 offset1:96
	ds_load_2addr_stride64_b32 v[11:12], v55 offset0:124 offset1:132
	s_and_saveexec_b32 s1, vcc_lo
	s_cbranch_execz .LBB0_17
; %bb.16:
	ds_load_2addr_stride64_b32 v[5:6], v55 offset0:32 offset1:68
	ds_load_b32 v45, v55 offset:26624
	ds_load_b32 v40, v55 offset:35840
	s_wait_dscnt 0x2
	v_lshrrev_b32_e32 v39, 16, v5
	v_lshrrev_b32_e32 v47, 16, v6
	s_wait_dscnt 0x1
	v_lshrrev_b32_e32 v46, 16, v45
	s_wait_dscnt 0x0
	v_lshrrev_b32_e32 v44, 16, v40
.LBB0_17:
	s_or_b32 exec_lo, exec_lo, s1
	v_and_b32_e32 v98, 0x7f, v0
	s_wait_dscnt 0x6
	v_lshrrev_b32_e32 v49, 16, v37
	s_wait_dscnt 0x5
	v_lshrrev_b32_e32 v50, 16, v35
	;; [unrolled: 2-line block ×3, first 2 shown]
	v_lshrrev_b32_e32 v53, 16, v38
	v_mad_co_u64_u32 v[20:21], null, v98, 12, s[2:3]
	v_and_or_b32 v110, 0x600, v55, v98
	v_and_or_b32 v111, 0x1e00, v121, v98
	v_and_or_b32 v42, 0xe00, v42, v98
	v_and_or_b32 v41, 0x1600, v41, v98
	v_lshrrev_b32_e32 v54, 16, v36
	v_lshlrev_b32_e32 v119, 2, v110
	global_load_b96 v[20:22], v[20:21], off offset:496
	v_lshlrev_b32_e32 v114, 2, v111
	v_lshrrev_b32_e32 v125, 16, v30
	s_wait_dscnt 0x2
	v_lshrrev_b32_e32 v127, 16, v15
	s_wait_dscnt 0x1
	;; [unrolled: 2-line block ×3, first 2 shown]
	v_lshrrev_b32_e32 v129, 16, v11
	v_lshrrev_b32_e32 v131, 16, v16
	;; [unrolled: 1-line block ×4, first 2 shown]
	v_lshlrev_b32_e32 v116, 2, v42
	v_lshlrev_b32_e32 v115, 2, v41
	v_lshrrev_b32_e32 v48, 16, v9
	v_lshrrev_b32_e32 v52, 16, v10
	v_lshrrev_b32_e32 v126, 16, v7
	v_lshrrev_b32_e32 v130, 16, v8
	global_wb scope:SCOPE_SE
	s_wait_loadcnt 0x0
	s_barrier_signal -1
	s_barrier_wait -1
	global_inv scope:SCOPE_SE
	v_lshrrev_b32_e32 v111, 16, v20
	v_lshrrev_b32_e32 v112, 16, v21
	;; [unrolled: 1-line block ×3, first 2 shown]
	s_delay_alu instid0(VALU_DEP_3) | instskip(SKIP_1) | instid1(VALU_DEP_4)
	v_mul_f16_e32 v41, v49, v111
	v_mul_f16_e32 v42, v37, v111
	v_mul_f16_e64 v134, v50, v112
	v_mul_f16_e64 v135, v35, v112
	;; [unrolled: 1-line block ×28, first 2 shown]
	v_fma_f16 v37, v37, v20, -v41
	v_fmac_f16_e32 v42, v49, v20
	v_fma_f16 v35, v35, v21, -v134
	v_fmac_f16_e64 v135, v50, v21
	v_fma_f16 v29, v29, v22, -v136
	v_fmac_f16_e64 v137, v51, v22
	;; [unrolled: 2-line block ×14, first 2 shown]
	v_sub_f16_e32 v35, v9, v35
	v_sub_f16_e64 v44, v48, v135
	v_sub_f16_e32 v29, v37, v29
	v_sub_f16_e64 v45, v42, v137
	;; [unrolled: 2-line block ×10, first 2 shown]
	v_fma_f16 v9, v9, 2.0, -v35
	v_fma_f16 v48, v48, 2.0, -v44
	;; [unrolled: 1-line block ×16, first 2 shown]
	v_sub_f16_e32 v45, v35, v45
	v_add_f16_e32 v29, v44, v29
	v_fma_f16 v7, v5, 2.0, -v11
	v_fma_f16 v5, v39, 2.0, -v6
	;; [unrolled: 1-line block ×4, first 2 shown]
	v_add_f16_e64 v145, v6, v40
	v_sub_f16_e32 v37, v9, v37
	v_sub_f16_e32 v40, v48, v42
	v_sub_f16_e64 v128, v46, v36
	v_add_f16_e32 v30, v47, v30
	v_sub_f16_e32 v36, v11, v125
	v_sub_f16_e32 v38, v10, v38
	;; [unrolled: 1-line block ×4, first 2 shown]
	v_add_f16_e32 v50, v49, v50
	v_sub_f16_e64 v15, v129, v15
	v_sub_f16_e64 v127, v126, v131
	v_sub_f16_e32 v54, v14, v54
	v_add_f16_e32 v12, v53, v12
	v_sub_f16_e32 v16, v8, v16
	v_sub_f16_e64 v131, v130, v132
	v_fma_f16 v42, v35, 2.0, -v45
	v_fma_f16 v44, v44, 2.0, -v29
	v_sub_f16_e64 v146, v5, v41
	v_fma_f16 v9, v9, 2.0, -v37
	v_fma_f16 v41, v48, 2.0, -v40
	;; [unrolled: 1-line block ×4, first 2 shown]
	v_pack_b32_f16 v29, v45, v29
	v_fma_f16 v10, v10, 2.0, -v38
	v_fma_f16 v45, v52, 2.0, -v125
	;; [unrolled: 1-line block ×4, first 2 shown]
	v_sub_f16_e32 v35, v7, v39
	v_pack_b32_f16 v39, v51, v50
	v_fma_f16 v48, v129, 2.0, -v15
	v_fma_f16 v50, v126, 2.0, -v127
	v_pack_b32_f16 v37, v37, v40
	v_fma_f16 v14, v14, 2.0, -v54
	v_fma_f16 v53, v53, 2.0, -v12
	;; [unrolled: 1-line block ×4, first 2 shown]
	v_pack_b32_f16 v30, v128, v30
	v_pack_b32_f16 v38, v38, v125
	;; [unrolled: 1-line block ×8, first 2 shown]
	ds_store_2addr_stride64_b32 v119, v37, v29 offset0:4 offset1:6
	v_pack_b32_f16 v29, v48, v50
	v_pack_b32_f16 v14, v14, v53
	;; [unrolled: 1-line block ×5, first 2 shown]
	ds_store_2addr_stride64_b32 v116, v38, v30 offset0:4 offset1:6
	ds_store_2addr_stride64_b32 v115, v15, v39 offset0:4 offset1:6
	ds_store_2addr_stride64_b32 v119, v9, v42 offset1:2
	ds_store_2addr_stride64_b32 v116, v10, v40 offset1:2
	;; [unrolled: 1-line block ×4, first 2 shown]
	ds_store_2addr_stride64_b32 v114, v16, v12 offset0:4 offset1:6
	s_and_saveexec_b32 s1, vcc_lo
	s_cbranch_execz .LBB0_19
; %bb.18:
	v_fma_f16 v8, v11, 2.0, -v36
	v_fma_f16 v7, v7, 2.0, -v35
	v_and_or_b32 v9, 0x2600, v89, v98
	v_fma_f16 v5, v5, 2.0, -v146
	v_fma_f16 v6, v6, 2.0, -v145
	s_delay_alu instid0(VALU_DEP_3) | instskip(NEXT) | instid1(VALU_DEP_3)
	v_lshlrev_b32_e32 v9, 2, v9
	v_pack_b32_f16 v5, v7, v5
	s_delay_alu instid0(VALU_DEP_3)
	v_pack_b32_f16 v6, v8, v6
	v_perm_b32 v7, v146, v35, 0x5040100
	v_perm_b32 v8, v145, v36, 0x5040100
	ds_store_2addr_stride64_b32 v9, v5, v6 offset1:2
	ds_store_2addr_stride64_b32 v9, v7, v8 offset0:4 offset1:6
.LBB0_19:
	s_or_b32 exec_lo, exec_lo, s1
	v_add_co_u32 v5, s1, s2, v43
	s_delay_alu instid0(VALU_DEP_1)
	v_add_co_ci_u32_e64 v6, null, s3, 0, s1
	global_wb scope:SCOPE_SE
	s_wait_dscnt 0x0
	s_barrier_signal -1
	s_barrier_wait -1
	global_inv scope:SCOPE_SE
	global_load_b64 v[29:30], v[5:6], off offset:2032
	ds_load_2addr_stride64_b32 v[7:8], v55 offset1:8
	ds_load_2addr_stride64_b32 v[9:10], v55 offset0:32 offset1:48
	ds_load_2addr_stride64_b32 v[11:12], v55 offset0:96 offset1:104
	;; [unrolled: 1-line block ×8, first 2 shown]
	v_mad_co_u64_u32 v[45:46], null, v0, 12, v[5:6]
	global_wb scope:SCOPE_SE
	s_wait_loadcnt_dscnt 0x0
	s_barrier_signal -1
	s_barrier_wait -1
	global_inv scope:SCOPE_SE
	s_add_nc_u64 s[2:3], s[12:13], 0x9000
	v_lshrrev_b32_e32 v5, 16, v7
	v_lshrrev_b32_e32 v6, 16, v10
	;; [unrolled: 1-line block ×20, first 2 shown]
	s_delay_alu instid0(VALU_DEP_2) | instskip(SKIP_1) | instid1(VALU_DEP_3)
	v_mul_f16_e64 v133, v6, v143
	v_mul_f16_e64 v134, v10, v143
	;; [unrolled: 1-line block ×24, first 2 shown]
	v_fma_f16 v10, v10, v29, -v133
	v_fmac_f16_e64 v134, v6, v29
	v_fma_f16 v6, v11, v30, -v135
	v_fmac_f16_e64 v136, v47, v30
	;; [unrolled: 2-line block ×12, first 2 shown]
	v_add_f16_e32 v47, v10, v6
	v_add_f16_e64 v52, v134, v136
	v_add_f16_e32 v125, v11, v12
	v_add_f16_e64 v129, v138, v140
	v_add_f16_e64 v132, v14, v37
	;; [unrolled: 1-line block ×3, first 2 shown]
	v_sub_f16_e64 v49, v134, v136
	v_add_f16_e64 v50, v5, v134
	v_sub_f16_e64 v126, v138, v140
	v_add_f16_e64 v128, v48, v138
	;; [unrolled: 2-line block ×3, first 2 shown]
	v_add_f16_e64 v138, v38, v39
	v_add_f16_e64 v144, v150, v152
	;; [unrolled: 1-line block ×5, first 2 shown]
	v_sub_f16_e64 v157, v158, v160
	v_add_f16_e64 v159, v130, v158
	v_add_f16_e64 v158, v158, v160
	v_add_f16_e32 v44, v7, v10
	v_sub_f16_e32 v10, v10, v6
	v_fma_f16 v7, -0.5, v47, v7
	v_fmac_f16_e32 v5, -0.5, v52
	v_add_f16_e32 v53, v8, v11
	v_sub_f16_e32 v11, v11, v12
	v_add_f16_e64 v131, v15, v14
	v_fmac_f16_e32 v8, -0.5, v125
	v_fmac_f16_e64 v48, -0.5, v129
	v_sub_f16_e32 v14, v14, v37
	v_fma_f16 v15, -0.5, v132, v15
	v_fmac_f16_e64 v51, -0.5, v135
	v_add_f16_e64 v137, v16, v38
	v_sub_f16_e64 v139, v150, v152
	v_add_f16_e64 v142, v54, v150
	v_sub_f16_e32 v38, v38, v39
	v_add_f16_e64 v147, v9, v41
	v_sub_f16_e64 v150, v154, v156
	v_add_f16_e64 v151, v127, v154
	v_sub_f16_e32 v41, v41, v40
	v_add_f16_e64 v154, v13, v43
	v_sub_f16_e32 v43, v43, v42
	v_fmac_f16_e64 v16, -0.5, v138
	v_fmac_f16_e64 v54, -0.5, v144
	;; [unrolled: 1-line block ×6, first 2 shown]
	v_add_f16_e32 v6, v44, v6
	v_add_f16_e64 v44, v50, v136
	v_add_f16_e64 v47, v128, v140
	v_fma_f16 v128, 0x3aee, v49, v7
	v_fmac_f16_e32 v7, 0xbaee, v49
	v_fmamk_f16 v49, v10, 0xbaee, v5
	v_add_f16_e32 v12, v53, v12
	v_fmac_f16_e32 v5, 0x3aee, v10
	v_add_f16_e64 v37, v131, v37
	v_add_f16_e64 v50, v134, v148
	v_fmamk_f16 v10, v126, 0x3aee, v8
	v_fmac_f16_e32 v8, 0xbaee, v126
	v_fmamk_f16 v126, v11, 0xbaee, v48
	v_fmac_f16_e32 v48, 0x3aee, v11
	v_fma_f16 v11, 0x3aee, v133, v15
	v_fma_f16 v129, 0xbaee, v14, v51
	v_add_f16_e64 v39, v137, v39
	v_add_f16_e64 v52, v142, v152
	v_fmac_f16_e64 v15, 0xbaee, v133
	v_fmac_f16_e32 v51, 0x3aee, v14
	v_fma_f16 v14, 0x3aee, v139, v16
	v_fmac_f16_e64 v16, 0xbaee, v139
	v_fma_f16 v131, 0xbaee, v38, v54
	v_fmac_f16_e32 v54, 0x3aee, v38
	v_fma_f16 v38, 0x3aee, v150, v9
	v_fmac_f16_e64 v9, 0xbaee, v150
	v_fma_f16 v132, 0xbaee, v41, v127
	;; [unrolled: 4-line block ×3, first 2 shown]
	v_fmac_f16_e64 v130, 0x3aee, v43
	v_add_f16_e64 v40, v147, v40
	v_add_f16_e64 v53, v151, v156
	;; [unrolled: 1-line block ×4, first 2 shown]
	v_pack_b32_f16 v6, v6, v44
	v_pack_b32_f16 v43, v128, v49
	;; [unrolled: 1-line block ×18, first 2 shown]
	ds_store_2addr_stride64_b32 v55, v6, v43 offset1:8
	ds_store_2addr_stride64_b32 v55, v5, v12 offset0:16 offset1:24
	ds_store_2addr_stride64_b32 v55, v7, v37 offset0:32 offset1:48
	;; [unrolled: 1-line block ×8, first 2 shown]
	global_wb scope:SCOPE_SE
	s_wait_dscnt 0x0
	s_barrier_signal -1
	s_barrier_wait -1
	global_inv scope:SCOPE_SE
	s_clause 0x5
	global_load_b128 v[13:16], v[45:46], off offset:6128
	global_load_b32 v127, v[45:46], off offset:6144
	global_load_b128 v[9:12], v[45:46], off offset:16368
	global_load_b32 v126, v[45:46], off offset:16384
	global_load_b128 v[5:8], v[45:46], off offset:26608
	global_load_b32 v125, v[45:46], off offset:26624
	ds_load_2addr_stride64_b32 v[37:38], v55 offset1:8
	ds_load_2addr_stride64_b32 v[39:40], v55 offset0:16 offset1:24
	ds_load_2addr_stride64_b32 v[41:42], v55 offset0:32 offset1:48
	ds_load_2addr_stride64_b32 v[43:44], v55 offset0:64 offset1:72
	ds_load_2addr_stride64_b32 v[45:46], v55 offset0:96 offset1:104
	ds_load_2addr_stride64_b32 v[47:48], v55 offset0:120 offset1:136
	ds_load_2addr_stride64_b32 v[49:50], v55 offset0:40 offset1:56
	ds_load_2addr_stride64_b32 v[51:52], v55 offset0:80 offset1:88
	ds_load_2addr_stride64_b32 v[53:54], v55 offset0:112 offset1:128
	s_wait_dscnt 0x8
	v_lshrrev_b32_e32 v147, 16, v37
	s_wait_dscnt 0x7
	v_lshrrev_b32_e32 v148, 16, v40
	;; [unrolled: 2-line block ×6, first 2 shown]
	v_lshrrev_b32_e32 v154, 16, v41
	s_wait_dscnt 0x1
	v_lshrrev_b32_e32 v156, 16, v51
	s_wait_dscnt 0x0
	v_lshrrev_b32_e32 v158, 16, v54
	v_lshrrev_b32_e32 v155, 16, v50
	;; [unrolled: 1-line block ×10, first 2 shown]
	s_wait_loadcnt 0x5
	v_lshrrev_b32_e32 v144, 16, v13
	v_lshrrev_b32_e32 v142, 16, v14
	;; [unrolled: 1-line block ×4, first 2 shown]
	s_wait_loadcnt 0x4
	v_lshrrev_b32_e32 v138, 16, v127
	s_wait_loadcnt 0x3
	v_lshrrev_b32_e32 v136, 16, v10
	v_lshrrev_b32_e32 v135, 16, v11
	;; [unrolled: 1-line block ×3, first 2 shown]
	s_wait_loadcnt 0x2
	v_lshrrev_b32_e32 v133, 16, v126
	v_lshrrev_b32_e32 v137, 16, v9
	s_wait_loadcnt 0x1
	v_lshrrev_b32_e32 v131, 16, v6
	v_lshrrev_b32_e32 v130, 16, v7
	;; [unrolled: 1-line block ×3, first 2 shown]
	s_wait_loadcnt 0x0
	v_lshrrev_b32_e32 v128, 16, v125
	v_lshrrev_b32_e32 v132, 16, v5
	v_mul_f16_e64 v165, v148, v144
	v_mul_f16_e64 v166, v40, v144
	;; [unrolled: 1-line block ×29, first 2 shown]
	v_fma_f16 v40, v40, v13, -v165
	v_fmac_f16_e64 v166, v148, v13
	v_fma_f16 v42, v42, v14, -v167
	v_fmac_f16_e64 v168, v149, v14
	;; [unrolled: 2-line block ×5, first 2 shown]
	v_fmac_f16_e64 v178, v155, v10
	v_fma_f16 v51, v51, v11, -v179
	v_fmac_f16_e64 v180, v156, v11
	v_fmac_f16_e64 v182, v157, v12
	v_fma_f16 v54, v54, v126, -v183
	v_fmac_f16_e64 v184, v158, v126
	v_mul_f16_e64 v191, v163, v129
	v_fma_f16 v41, v41, v9, -v175
	v_fmac_f16_e64 v176, v154, v9
	v_fma_f16 v50, v50, v10, -v177
	v_fma_f16 v46, v46, v12, -v181
	v_fmac_f16_e64 v188, v161, v6
	v_fma_f16 v52, v52, v7, -v189
	v_fmac_f16_e64 v190, v162, v7
	v_fmac_f16_e64 v192, v163, v8
	v_fma_f16 v48, v48, v125, -v193
	v_fmac_f16_e64 v194, v164, v125
	v_fma_f16 v49, v49, v5, -v185
	;; [unrolled: 2-line block ×3, first 2 shown]
	v_add_f16_e64 v148, v37, v42
	v_add_f16_e64 v149, v42, v45
	;; [unrolled: 1-line block ×6, first 2 shown]
	v_sub_f16_e64 v156, v170, v174
	v_add_f16_e64 v157, v166, v170
	v_add_f16_e64 v158, v170, v174
	;; [unrolled: 1-line block ×5, first 2 shown]
	v_fma_f16 v53, v53, v8, -v191
	v_sub_f16_e64 v150, v168, v172
	v_add_f16_e64 v160, v38, v50
	v_add_f16_e64 v161, v50, v46
	v_sub_f16_e64 v162, v178, v182
	v_add_f16_e64 v163, v153, v178
	v_add_f16_e64 v165, v41, v51
	;; [unrolled: 3-line block ×3, first 2 shown]
	v_add_f16_e64 v180, v52, v48
	v_add_f16_e64 v185, v190, v194
	v_sub_f16_e32 v42, v42, v45
	v_sub_f16_e32 v44, v44, v47
	;; [unrolled: 1-line block ×4, first 2 shown]
	v_add_f16_e64 v171, v39, v43
	v_add_f16_e64 v177, v159, v188
	;; [unrolled: 1-line block ×5, first 2 shown]
	v_fma_f16 v37, -0.5, v149, v37
	v_add_f16_e64 v148, v151, v172
	v_fmac_f16_e64 v147, -0.5, v152
	v_add_f16_e64 v47, v154, v47
	v_fmac_f16_e64 v40, -0.5, v155
	;; [unrolled: 2-line block ×3, first 2 shown]
	v_fmac_f16_e64 v153, -0.5, v164
	v_fmac_f16_e64 v41, -0.5, v167
	;; [unrolled: 1-line block ×3, first 2 shown]
	v_add_f16_e64 v173, v43, v53
	v_sub_f16_e32 v43, v43, v53
	v_sub_f16_e64 v181, v190, v194
	v_sub_f16_e32 v52, v52, v48
	v_add_f16_e64 v46, v160, v46
	v_fmac_f16_e64 v38, -0.5, v161
	v_add_f16_e64 v151, v163, v182
	v_add_f16_e64 v54, v165, v54
	;; [unrolled: 1-line block ×3, first 2 shown]
	v_fmac_f16_e64 v159, -0.5, v178
	v_fmac_f16_e64 v49, -0.5, v180
	;; [unrolled: 1-line block ×3, first 2 shown]
	v_add_f16_e64 v53, v171, v53
	v_add_f16_e64 v154, v177, v192
	;; [unrolled: 1-line block ×4, first 2 shown]
	v_fma_f16 v157, 0x3aee, v150, v37
	v_fmac_f16_e64 v37, 0xbaee, v150
	v_fma_f16 v150, 0xbaee, v42, v147
	v_fmac_f16_e64 v147, 0x3aee, v42
	;; [unrolled: 2-line block ×4, first 2 shown]
	v_add_f16_e32 v44, v45, v47
	v_add_f16_e64 v158, v148, v149
	v_sub_f16_e32 v45, v45, v47
	v_sub_f16_e64 v47, v148, v149
	v_fma_f16 v149, 0xbaee, v50, v153
	v_fmac_f16_e64 v153, 0x3aee, v50
	v_fma_f16 v50, 0x3aee, v168, v41
	v_fma_f16 v160, 0xbaee, v51, v176
	;; [unrolled: 1-line block ×3, first 2 shown]
	v_fmac_f16_e64 v38, 0xbaee, v162
	v_fmac_f16_e64 v41, 0xbaee, v168
	;; [unrolled: 1-line block ×3, first 2 shown]
	v_add_f16_e32 v51, v46, v54
	v_add_f16_e64 v161, v151, v152
	v_sub_f16_e32 v46, v46, v54
	v_sub_f16_e64 v54, v151, v152
	v_fma_f16 v152, 0xbaee, v43, v159
	v_fmac_f16_e64 v159, 0x3aee, v43
	v_fma_f16 v43, 0x3aee, v181, v49
	v_fma_f16 v162, 0xbaee, v52, v186
	v_fmac_f16_e64 v49, 0xbaee, v181
	v_fmac_f16_e64 v186, 0x3aee, v52
	v_add_f16_e32 v52, v53, v48
	v_add_f16_e64 v163, v154, v155
	v_sub_f16_e32 v48, v53, v48
	v_sub_f16_e64 v53, v154, v155
	v_mul_f16_e64 v154, 0x3aee, v156
	v_mul_f16_e64 v155, -0.5, v40
	v_mul_f16_e64 v164, 0xbaee, v42
	v_mul_f16_e64 v165, -0.5, v166
	v_mul_f16_e64 v167, 0x3aee, v160
	v_mul_f16_e64 v169, 0xbaee, v50
	v_sub_f16_e64 v175, v188, v192
	v_fmac_f16_e64 v39, -0.5, v173
	v_mul_f16_e64 v168, -0.5, v41
	v_mul_f16_e64 v170, -0.5, v176
	v_mul_f16_e64 v171, 0x3aee, v162
	v_mul_f16_e64 v173, 0xbaee, v43
	v_mul_f16_e64 v172, -0.5, v49
	v_mul_f16_e64 v174, -0.5, v186
	v_fmac_f16_e64 v154, 0.5, v42
	v_fmac_f16_e64 v155, 0x3aee, v166
	v_fmac_f16_e64 v164, 0.5, v156
	v_fmac_f16_e64 v165, 0xbaee, v40
	v_fmac_f16_e64 v167, 0.5, v50
	v_fmac_f16_e64 v169, 0.5, v160
	v_pack_b32_f16 v44, v44, v158
	v_pack_b32_f16 v45, v45, v47
	;; [unrolled: 1-line block ×5, first 2 shown]
	v_fma_f16 v151, 0x3aee, v175, v39
	v_fmac_f16_e64 v168, 0x3aee, v176
	v_fmac_f16_e64 v170, 0xbaee, v41
	v_fmac_f16_e64 v171, 0.5, v43
	v_fmac_f16_e64 v173, 0.5, v162
	v_fmac_f16_e64 v39, 0xbaee, v175
	v_fmac_f16_e64 v172, 0x3aee, v186
	;; [unrolled: 1-line block ×3, first 2 shown]
	v_pack_b32_f16 v51, v52, v163
	v_add_f16_e64 v40, v157, v154
	v_add_f16_e64 v41, v37, v155
	;; [unrolled: 1-line block ×6, first 2 shown]
	ds_store_2addr_stride64_b32 v55, v44, v47 offset1:8
	ds_store_2addr_stride64_b32 v55, v46, v48 offset0:80 offset1:88
	v_sub_f16_e64 v44, v157, v154
	v_sub_f16_e64 v46, v37, v155
	;; [unrolled: 1-line block ×6, first 2 shown]
	v_add_f16_e64 v50, v38, v168
	v_add_f16_e64 v53, v153, v170
	;; [unrolled: 1-line block ×6, first 2 shown]
	v_sub_f16_e64 v150, v38, v168
	v_sub_f16_e64 v153, v153, v170
	;; [unrolled: 1-line block ×6, first 2 shown]
	v_pack_b32_f16 v39, v40, v42
	v_pack_b32_f16 v40, v41, v43
	;; [unrolled: 1-line block ×12, first 2 shown]
	ds_store_2addr_stride64_b32 v55, v43, v40 offset0:32 offset1:48
	ds_store_2addr_stride64_b32 v55, v41, v46 offset0:96 offset1:104
	;; [unrolled: 1-line block ×7, first 2 shown]
	global_wb scope:SCOPE_SE
	s_wait_dscnt 0x0
	s_barrier_signal -1
	s_barrier_wait -1
	global_inv scope:SCOPE_SE
	s_clause 0xf
	global_load_b32 v149, v[26:27], off offset:36864
	global_load_b32 v150, v55, s[2:3] offset:9216
	global_load_b32 v151, v55, s[2:3] offset:18432
	;; [unrolled: 1-line block ×15, first 2 shown]
	ds_load_2addr_stride64_b32 v[39:40], v55 offset1:8
	ds_load_2addr_stride64_b32 v[41:42], v55 offset0:36 offset1:44
	ds_load_2addr_stride64_b32 v[43:44], v55 offset0:72 offset1:80
	;; [unrolled: 1-line block ×7, first 2 shown]
	s_wait_dscnt 0x7
	v_lshrrev_b32_e32 v165, 16, v39
	v_lshrrev_b32_e32 v169, 16, v40
	s_wait_dscnt 0x6
	v_lshrrev_b32_e32 v166, 16, v41
	v_lshrrev_b32_e32 v170, 16, v42
	s_wait_dscnt 0x5
	v_lshrrev_b32_e32 v167, 16, v43
	v_lshrrev_b32_e32 v171, 16, v44
	s_wait_dscnt 0x4
	v_lshrrev_b32_e32 v168, 16, v45
	v_lshrrev_b32_e32 v172, 16, v46
	s_wait_dscnt 0x3
	v_lshrrev_b32_e32 v173, 16, v47
	v_lshrrev_b32_e32 v177, 16, v48
	s_wait_dscnt 0x2
	v_lshrrev_b32_e32 v174, 16, v49
	s_wait_dscnt 0x1
	v_lshrrev_b32_e32 v175, 16, v51
	;; [unrolled: 2-line block ×3, first 2 shown]
	v_lshrrev_b32_e32 v178, 16, v50
	v_lshrrev_b32_e32 v179, 16, v52
	;; [unrolled: 1-line block ×3, first 2 shown]
	s_wait_loadcnt 0xf
	v_lshrrev_b32_e32 v181, 16, v149
	s_wait_loadcnt 0xe
	v_lshrrev_b32_e32 v182, 16, v150
	;; [unrolled: 2-line block ×16, first 2 shown]
	v_mul_f16_e64 v197, v165, v181
	v_mul_f16_e64 v181, v39, v181
	;; [unrolled: 1-line block ×32, first 2 shown]
	v_fma_f16 v39, v39, v149, -v197
	v_fmac_f16_e64 v181, v165, v149
	v_fma_f16 v40, v40, v153, -v201
	v_fmac_f16_e64 v185, v169, v153
	;; [unrolled: 2-line block ×16, first 2 shown]
	v_pack_b32_f16 v39, v39, v181
	v_pack_b32_f16 v40, v40, v185
	;; [unrolled: 1-line block ×16, first 2 shown]
	ds_store_2addr_stride64_b32 v55, v39, v40 offset1:8
	ds_store_2addr_stride64_b32 v55, v41, v42 offset0:36 offset1:44
	ds_store_2addr_stride64_b32 v55, v43, v44 offset0:72 offset1:80
	;; [unrolled: 1-line block ×7, first 2 shown]
	s_and_saveexec_b32 s1, vcc_lo
	s_cbranch_execz .LBB0_21
; %bb.20:
	s_wait_alu 0xfffe
	v_add_co_u32 v39, s2, s2, v55
	s_wait_alu 0xf1ff
	v_add_co_ci_u32_e64 v40, null, s3, 0, s2
	s_clause 0x3
	global_load_b32 v43, v[39:40], off offset:8192
	global_load_b32 v44, v[39:40], off offset:17408
	;; [unrolled: 1-line block ×4, first 2 shown]
	ds_load_2addr_stride64_b32 v[39:40], v55 offset0:32 offset1:68
	ds_load_2addr_stride64_b32 v[41:42], v55 offset0:104 offset1:140
	s_wait_dscnt 0x1
	v_lshrrev_b32_e32 v47, 16, v39
	v_lshrrev_b32_e32 v48, 16, v40
	s_wait_dscnt 0x0
	v_lshrrev_b32_e32 v49, 16, v41
	v_lshrrev_b32_e32 v51, 16, v42
	s_wait_loadcnt 0x3
	v_lshrrev_b32_e32 v50, 16, v43
	s_wait_loadcnt 0x2
	;; [unrolled: 2-line block ×4, first 2 shown]
	v_lshrrev_b32_e32 v54, 16, v46
	v_mul_f16_e64 v149, v47, v50
	v_mul_f16_e32 v50, v39, v50
	v_mul_f16_e64 v150, v48, v52
	v_mul_f16_e32 v52, v40, v52
	;; [unrolled: 2-line block ×4, first 2 shown]
	v_fma_f16 v39, v39, v43, -v149
	v_fmac_f16_e32 v50, v47, v43
	v_fma_f16 v40, v40, v44, -v150
	v_fmac_f16_e32 v52, v48, v44
	v_fma_f16 v41, v41, v45, -v151
	v_fmac_f16_e32 v53, v49, v45
	v_fma_f16 v42, v42, v46, -v152
	v_fmac_f16_e32 v54, v51, v46
	v_pack_b32_f16 v39, v39, v50
	v_pack_b32_f16 v40, v40, v52
	;; [unrolled: 1-line block ×3, first 2 shown]
	s_delay_alu instid0(VALU_DEP_4)
	v_pack_b32_f16 v42, v42, v54
	ds_store_2addr_stride64_b32 v55, v39, v40 offset0:32 offset1:68
	ds_store_2addr_stride64_b32 v55, v41, v42 offset0:104 offset1:140
.LBB0_21:
	s_wait_alu 0xfffe
	s_or_b32 exec_lo, exec_lo, s1
	global_wb scope:SCOPE_SE
	s_wait_dscnt 0x0
	s_barrier_signal -1
	s_barrier_wait -1
	global_inv scope:SCOPE_SE
	ds_load_2addr_stride64_b32 v[45:46], v55 offset1:8
	ds_load_2addr_stride64_b32 v[47:48], v55 offset0:36 offset1:44
	ds_load_2addr_stride64_b32 v[51:52], v55 offset0:72 offset1:80
	;; [unrolled: 1-line block ×7, first 2 shown]
	v_lshlrev_b32_e32 v149, 2, v121
	s_and_saveexec_b32 s1, vcc_lo
	s_cbranch_execz .LBB0_23
; %bb.22:
	ds_load_2addr_stride64_b32 v[37:38], v55 offset0:32 offset1:68
	ds_load_2addr_stride64_b32 v[35:36], v55 offset0:104 offset1:140
	s_wait_dscnt 0x1
	v_lshrrev_b32_e32 v147, 16, v37
	v_lshrrev_b32_e32 v148, 16, v38
	s_wait_dscnt 0x0
	v_lshrrev_b32_e32 v146, 16, v35
	v_lshrrev_b32_e32 v145, 16, v36
.LBB0_23:
	s_wait_alu 0xfffe
	s_or_b32 exec_lo, exec_lo, s1
	s_wait_dscnt 0x5
	v_pk_add_f16 v52, v46, v52 neg_lo:[0,1] neg_hi:[0,1]
	s_wait_dscnt 0x4
	v_pk_add_f16 v53, v47, v53 neg_lo:[0,1] neg_hi:[0,1]
	v_pk_add_f16 v54, v48, v54 neg_lo:[0,1] neg_hi:[0,1]
	;; [unrolled: 1-line block ×3, first 2 shown]
	s_wait_dscnt 0x1
	v_pk_add_f16 v150, v41, v39 neg_lo:[0,1] neg_hi:[0,1]
	v_lshrrev_b32_e32 v152, 16, v52
	v_lshrrev_b32_e32 v39, 16, v53
	s_wait_dscnt 0x0
	v_pk_add_f16 v49, v43, v49 neg_lo:[0,1] neg_hi:[0,1]
	v_pk_add_f16 v50, v44, v50 neg_lo:[0,1] neg_hi:[0,1]
	v_sub_f16_e64 v163, v37, v35
	v_sub_f16_e64 v155, v152, v54
	v_sub_f16_e32 v36, v38, v36
	v_add_f16_e64 v153, v51, v39
	v_lshrrev_b32_e32 v39, 16, v49
	v_lshrrev_b32_e32 v35, 16, v50
	v_fma_f16 v160, v152, 2.0, -v155
	v_pk_add_f16 v152, v42, v40 neg_lo:[0,1] neg_hi:[0,1]
	v_sub_f16_e64 v164, v147, v146
	v_fma_f16 v37, v37, 2.0, -v163
	v_sub_f16_e64 v145, v148, v145
	v_fma_f16 v38, v38, 2.0, -v36
	v_lshrrev_b32_e32 v121, 16, v51
	v_add_f16_e64 v159, v150, v39
	v_add_f16_e64 v165, v152, v35
	v_fma_f16 v147, v147, 2.0, -v164
	v_fma_f16 v35, v148, 2.0, -v145
	v_sub_f16_e32 v39, v37, v38
	v_lshrrev_b32_e32 v151, 16, v54
	v_sub_f16_e64 v154, v121, v53
	v_lshrrev_b32_e32 v40, 16, v152
	v_sub_f16_e64 v146, v147, v35
	v_fma_f16 v35, v37, 2.0, -v39
	v_pk_fma_f16 v37, v45, 2.0, v51 op_sel_hi:[1,0,1] neg_lo:[0,0,1] neg_hi:[0,0,1]
	v_pk_fma_f16 v45, v47, 2.0, v53 op_sel_hi:[1,0,1] neg_lo:[0,0,1] neg_hi:[0,0,1]
	v_add_f16_e64 v151, v52, v151
	v_fma_f16 v157, v121, 2.0, -v154
	v_lshrrev_b32_e32 v121, 16, v150
	v_sub_f16_e64 v166, v40, v50
	v_pk_add_f16 v47, v37, v45 neg_lo:[0,1] neg_hi:[0,1]
	v_fma_f16 v158, v52, 2.0, -v151
	v_pk_fma_f16 v52, v46, 2.0, v52 op_sel_hi:[1,0,1] neg_lo:[0,0,1] neg_hi:[0,0,1]
	v_pk_fma_f16 v46, v48, 2.0, v54 op_sel_hi:[1,0,1] neg_lo:[0,0,1] neg_hi:[0,0,1]
	v_sub_f16_e64 v161, v121, v49
	v_pk_fma_f16 v45, v37, 2.0, v47 op_sel_hi:[1,0,1] neg_lo:[0,0,1] neg_hi:[0,0,1]
	v_pk_fma_f16 v37, v41, 2.0, v150 op_sel_hi:[1,0,1] neg_lo:[0,0,1] neg_hi:[0,0,1]
	;; [unrolled: 1-line block ×5, first 2 shown]
	v_fma_f16 v156, v51, 2.0, -v153
	v_fma_f16 v167, v40, 2.0, -v166
	v_add_f16_e64 v40, v145, v163
	v_sub_f16_e64 v145, v164, v36
	v_pk_add_f16 v43, v52, v46 neg_lo:[0,1] neg_hi:[0,1]
	v_fma_f16 v162, v150, 2.0, -v159
	v_fma_f16 v38, v121, 2.0, -v161
	v_pk_add_f16 v51, v37, v41 neg_lo:[0,1] neg_hi:[0,1]
	v_fma_f16 v148, v152, 2.0, -v165
	v_pk_add_f16 v152, v53, v42 neg_lo:[0,1] neg_hi:[0,1]
	v_fma_f16 v121, v147, 2.0, -v146
	v_fma_f16 v36, v163, 2.0, -v40
	;; [unrolled: 1-line block ×3, first 2 shown]
	v_pack_b32_f16 v48, v153, v154
	v_pack_b32_f16 v46, v156, v157
	v_pk_fma_f16 v41, v52, 2.0, v43 op_sel_hi:[1,0,1] neg_lo:[0,0,1] neg_hi:[0,0,1]
	v_pack_b32_f16 v44, v151, v155
	v_pack_b32_f16 v42, v158, v160
	v_pk_fma_f16 v49, v37, 2.0, v51 op_sel_hi:[1,0,1] neg_lo:[0,0,1] neg_hi:[0,0,1]
	;; [unrolled: 3-line block ×3, first 2 shown]
	v_pack_b32_f16 v153, v165, v166
	v_pack_b32_f16 v151, v148, v167
	global_wb scope:SCOPE_SE
	s_barrier_signal -1
	s_barrier_wait -1
	global_inv scope:SCOPE_SE
	ds_store_b128 v94, v[45:48]
	ds_store_b128 v95, v[41:44]
	;; [unrolled: 1-line block ×4, first 2 shown]
	s_and_saveexec_b32 s1, vcc_lo
	s_cbranch_execz .LBB0_25
; %bb.24:
	v_perm_b32 v44, v145, v40, 0x5040100
	v_perm_b32 v43, v146, v39, 0x5040100
	;; [unrolled: 1-line block ×4, first 2 shown]
	ds_store_b128 v96, v[41:44]
.LBB0_25:
	s_wait_alu 0xfffe
	s_or_b32 exec_lo, exec_lo, s1
	global_wb scope:SCOPE_SE
	s_wait_dscnt 0x0
	s_barrier_signal -1
	s_barrier_wait -1
	global_inv scope:SCOPE_SE
	ds_load_2addr_stride64_b32 v[37:38], v55 offset1:8
	ds_load_2addr_stride64_b32 v[53:54], v55 offset0:18 offset1:26
	ds_load_2addr_stride64_b32 v[51:52], v55 offset0:36 offset1:44
	;; [unrolled: 1-line block ×7, first 2 shown]
	s_and_saveexec_b32 s1, s0
	s_cbranch_execz .LBB0_27
; %bb.26:
	ds_load_2addr_stride64_b32 v[35:36], v55 offset0:16 offset1:34
	ds_load_2addr_stride64_b32 v[39:40], v55 offset0:52 offset1:70
	ds_load_2addr_stride64_b32 v[33:34], v55 offset0:88 offset1:106
	ds_load_2addr_stride64_b32 v[31:32], v55 offset0:124 offset1:142
	s_wait_dscnt 0x3
	v_lshrrev_b32_e32 v121, 16, v35
	v_lshrrev_b32_e32 v147, 16, v36
	s_wait_dscnt 0x2
	v_lshrrev_b32_e32 v146, 16, v39
	v_lshrrev_b32_e32 v145, 16, v40
	;; [unrolled: 3-line block ×4, first 2 shown]
.LBB0_27:
	s_wait_alu 0xfffe
	s_or_b32 exec_lo, exec_lo, s1
	s_wait_dscnt 0x6
	v_lshrrev_b32_e32 v95, 16, v53
	s_wait_dscnt 0x5
	v_lshrrev_b32_e32 v96, 16, v51
	;; [unrolled: 2-line block ×5, first 2 shown]
	v_mul_f16_e64 v157, v109, v95
	v_mul_f16_e64 v160, v109, v53
	;; [unrolled: 1-line block ×3, first 2 shown]
	s_wait_dscnt 0x1
	v_lshrrev_b32_e32 v150, 16, v43
	v_mul_f16_e64 v163, v107, v49
	v_fmac_f16_e64 v157, v1, v53
	v_mul_f16_e32 v53, v108, v96
	v_fma_f16 v95, v1, v95, -v160
	v_mul_f16_e64 v160, v107, v97
	s_wait_dscnt 0x0
	v_lshrrev_b32_e32 v151, 16, v41
	v_lshrrev_b32_e32 v153, 16, v54
	v_fmac_f16_e32 v53, v2, v51
	v_fma_f16 v51, v2, v96, -v162
	v_mul_f16_e64 v96, v106, v148
	v_mul_f16_e64 v162, v105, v149
	v_fmac_f16_e64 v160, v3, v49
	v_fma_f16 v49, v3, v97, -v163
	v_mul_f16_e32 v97, v106, v47
	v_fmac_f16_e32 v96, v4, v47
	v_mul_f16_e32 v47, v105, v45
	v_mul_f16_e64 v163, v104, v150
	v_fmac_f16_e64 v162, v17, v45
	v_mul_f16_e32 v45, v104, v43
	v_lshrrev_b32_e32 v154, 16, v52
	v_lshrrev_b32_e32 v155, 16, v50
	;; [unrolled: 1-line block ×3, first 2 shown]
	v_fma_f16 v97, v4, v148, -v97
	v_fma_f16 v47, v17, v149, -v47
	v_fmac_f16_e64 v163, v18, v43
	v_mul_f16_e64 v43, v99, v151
	v_mul_f16_e64 v148, v99, v41
	v_fma_f16 v45, v18, v150, -v45
	v_mul_f16_e64 v149, v109, v153
	v_mul_f16_e64 v150, v109, v54
	v_lshrrev_b32_e32 v158, 16, v46
	v_fmac_f16_e32 v43, v19, v41
	v_fma_f16 v41, v19, v151, -v148
	v_mul_f16_e64 v148, v108, v154
	v_fmac_f16_e64 v149, v1, v54
	v_fma_f16 v54, v1, v153, -v150
	v_mul_f16_e64 v150, v108, v52
	v_mul_f16_e64 v151, v107, v155
	;; [unrolled: 1-line block ×3, first 2 shown]
	v_lshrrev_b32_e32 v159, 16, v44
	v_lshrrev_b32_e32 v161, 16, v42
	v_fmac_f16_e64 v148, v2, v52
	v_mul_f16_e32 v52, v107, v50
	v_fma_f16 v150, v2, v154, -v150
	v_fmac_f16_e64 v151, v3, v50
	v_mul_f16_e32 v50, v106, v48
	v_fmac_f16_e64 v153, v4, v48
	v_mul_f16_e64 v48, v105, v158
	v_mul_f16_e64 v154, v105, v46
	v_fma_f16 v52, v3, v155, -v52
	v_fma_f16 v50, v4, v156, -v50
	v_mul_f16_e64 v155, v104, v159
	v_mul_f16_e64 v156, v104, v44
	v_fmac_f16_e32 v48, v17, v46
	v_fma_f16 v46, v17, v158, -v154
	v_mul_f16_e64 v154, v99, v161
	v_fmac_f16_e64 v155, v18, v44
	v_fma_f16 v44, v18, v159, -v156
	v_mul_f16_e64 v156, v99, v42
	v_mul_f16_e64 v158, v109, v147
	v_fmac_f16_e64 v154, v19, v42
	v_mul_f16_e32 v42, v109, v36
	v_mul_f16_e64 v109, v108, v146
	v_lshrrev_b32_e32 v94, 16, v37
	v_fmac_f16_e64 v158, v1, v36
	v_mul_f16_e32 v36, v108, v39
	v_fma_f16 v1, v1, v147, -v42
	v_fmac_f16_e32 v109, v2, v39
	v_mul_f16_e64 v39, v107, v145
	v_mul_f16_e32 v42, v107, v40
	v_fma_f16 v2, v2, v146, -v36
	v_mul_f16_e32 v36, v106, v124
	v_mul_f16_e32 v106, v106, v33
	v_fmac_f16_e32 v39, v3, v40
	v_fma_f16 v3, v3, v145, -v42
	v_mul_f16_e32 v40, v105, v123
	v_mul_f16_e32 v42, v104, v122
	v_fmac_f16_e32 v36, v4, v33
	v_mul_f16_e32 v33, v105, v34
	v_sub_f16_e32 v45, v51, v45
	v_fmac_f16_e32 v40, v17, v34
	v_mul_f16_e32 v34, v104, v31
	v_fmac_f16_e32 v42, v18, v31
	v_sub_f16_e32 v31, v37, v96
	v_sub_f16_e64 v96, v157, v162
	v_sub_f16_e32 v41, v49, v41
	v_fma_f16 v17, v17, v123, -v33
	v_fma_f16 v18, v18, v122, -v34
	v_sub_f16_e32 v33, v94, v97
	v_sub_f16_e64 v34, v53, v163
	v_sub_f16_e32 v47, v95, v47
	v_fma_f16 v51, v51, 2.0, -v45
	v_sub_f16_e64 v43, v160, v43
	v_fma_f16 v49, v49, 2.0, -v41
	v_add_f16_e32 v45, v31, v45
	v_add_f16_e32 v41, v96, v41
	v_mul_f16_e32 v104, v99, v120
	v_fma_f16 v37, v37, 2.0, -v31
	v_fma_f16 v53, v53, 2.0, -v34
	v_fma_f16 v97, v157, 2.0, -v96
	v_fma_f16 v105, v160, 2.0, -v43
	v_sub_f16_e32 v34, v33, v34
	v_fma_f16 v31, v31, 2.0, -v45
	v_sub_f16_e32 v43, v47, v43
	v_fma_f16 v96, v96, 2.0, -v41
	v_fma_f16 v4, v4, v124, -v106
	v_fmac_f16_e32 v104, v19, v32
	v_fma_f16 v94, v94, 2.0, -v33
	v_fma_f16 v95, v95, 2.0, -v47
	;; [unrolled: 1-line block ×4, first 2 shown]
	v_fmamk_f16 v106, v96, 0xb9a8, v31
	v_mul_f16_e32 v32, v99, v32
	v_lshrrev_b32_e32 v152, 16, v38
	v_fma_f16 v156, v19, v161, -v156
	v_fmamk_f16 v99, v47, 0xb9a8, v33
	v_fmac_f16_e32 v106, 0x39a8, v47
	v_fma_f16 v19, v19, v120, -v32
	v_fmamk_f16 v108, v41, 0x39a8, v45
	v_fmamk_f16 v120, v43, 0x39a8, v34
	v_fmac_f16_e32 v99, 0xb9a8, v96
	v_fma_f16 v96, v31, 2.0, -v106
	v_sub_f16_e64 v31, v38, v153
	v_fmac_f16_e32 v108, 0x39a8, v43
	v_fmac_f16_e32 v120, 0xb9a8, v41
	v_sub_f16_e64 v32, v152, v50
	v_sub_f16_e64 v41, v150, v44
	;; [unrolled: 1-line block ×3, first 2 shown]
	v_sub_f16_e32 v46, v54, v46
	v_sub_f16_e64 v123, v52, v156
	v_fma_f16 v107, v33, 2.0, -v99
	v_sub_f16_e64 v33, v148, v155
	v_fma_f16 v44, v152, 2.0, -v32
	v_fma_f16 v48, v150, 2.0, -v41
	v_sub_f16_e64 v122, v151, v154
	v_fma_f16 v54, v54, 2.0, -v46
	v_fma_f16 v52, v52, 2.0, -v123
	v_add_f16_e32 v41, v31, v41
	v_add_f16_e32 v123, v43, v123
	v_fma_f16 v38, v38, 2.0, -v31
	v_fma_f16 v47, v148, 2.0, -v33
	;; [unrolled: 1-line block ×3, first 2 shown]
	v_sub_f16_e32 v48, v44, v48
	v_fma_f16 v124, v151, 2.0, -v122
	v_sub_f16_e32 v33, v32, v33
	v_fma_f16 v31, v31, 2.0, -v41
	v_sub_f16_e32 v122, v46, v122
	v_sub_f16_e32 v52, v54, v52
	v_fma_f16 v43, v43, 2.0, -v123
	v_fma_f16 v44, v44, 2.0, -v48
	;; [unrolled: 1-line block ×5, first 2 shown]
	v_fma_f16 v145, 0xb9a8, v43, v31
	v_sub_f16_e32 v47, v38, v47
	v_sub_f16_e32 v4, v121, v4
	v_fma_f16 v147, 0xb9a8, v46, v32
	v_sub_f16_e32 v54, v44, v54
	v_fmac_f16_e64 v145, 0x39a8, v46
	v_sub_f16_e32 v18, v2, v18
	v_fma_f16 v146, v45, 2.0, -v108
	v_fmac_f16_e64 v147, 0xb9a8, v43
	v_fma_f16 v43, v44, 2.0, -v54
	v_fma_f16 v44, v31, 2.0, -v145
	v_sub_f16_e32 v31, v35, v36
	v_fma_f16 v148, v34, 2.0, -v120
	v_add_f16_e32 v52, v47, v52
	v_fma_f16 v149, v32, 2.0, -v147
	v_sub_f16_e32 v34, v109, v42
	v_fma_f16 v32, v35, 2.0, -v31
	v_sub_f16_e64 v35, v158, v40
	v_fma_f16 v36, v121, 2.0, -v4
	v_sub_f16_e32 v17, v1, v17
	v_fma_f16 v2, v2, 2.0, -v18
	v_sub_f16_e32 v45, v39, v104
	v_sub_f16_e32 v19, v3, v19
	;; [unrolled: 1-line block ×6, first 2 shown]
	v_fma_f16 v38, v38, 2.0, -v47
	v_fma_f16 v150, 0x39a8, v123, v41
	v_fma_f16 v151, 0x39a8, v122, v33
	v_fma_f16 v152, v47, 2.0, -v52
	v_fma_f16 v40, v109, 2.0, -v34
	;; [unrolled: 1-line block ×4, first 2 shown]
	v_sub_f16_e32 v47, v36, v2
	v_fma_f16 v2, v39, 2.0, -v45
	v_fma_f16 v3, v3, 2.0, -v19
	v_sub_f16_e32 v104, v4, v34
	v_sub_f16_e32 v45, v17, v45
	v_fma_f16 v37, v37, 2.0, -v53
	v_fma_f16 v94, v94, 2.0, -v51
	;; [unrolled: 1-line block ×4, first 2 shown]
	v_fmac_f16_e64 v150, 0x39a8, v122
	v_fmac_f16_e64 v151, 0xb9a8, v123
	v_sub_f16_e32 v40, v32, v40
	v_add_f16_e32 v18, v18, v31
	v_sub_f16_e32 v109, v42, v2
	v_add_f16_e32 v121, v19, v35
	v_sub_f16_e32 v122, v1, v3
	v_fma_f16 v123, v4, 2.0, -v104
	v_fma_f16 v17, v17, 2.0, -v45
	v_sub_f16_e32 v124, v50, v124
	v_sub_f16_e32 v97, v37, v97
	;; [unrolled: 1-line block ×3, first 2 shown]
	v_fma_f16 v39, v32, 2.0, -v40
	v_fma_f16 v36, v36, 2.0, -v47
	;; [unrolled: 1-line block ×6, first 2 shown]
	v_fmamk_f16 v32, v17, 0xb9a8, v123
	v_add_f16_e32 v49, v53, v49
	v_sub_f16_e32 v105, v51, v105
	v_fma_f16 v50, v50, 2.0, -v124
	v_fma_f16 v37, v37, 2.0, -v97
	;; [unrolled: 1-line block ×3, first 2 shown]
	v_sub_f16_e32 v3, v39, v2
	v_fmamk_f16 v4, v34, 0xb9a8, v46
	v_sub_f16_e32 v31, v36, v1
	v_fma_f16 v42, v33, 2.0, -v151
	v_fmac_f16_e32 v32, 0xb9a8, v34
	v_fmamk_f16 v33, v121, 0x39a8, v18
	v_fmamk_f16 v34, v45, 0x39a8, v104
	v_fma_f16 v53, v53, 2.0, -v49
	v_fma_f16 v51, v51, 2.0, -v105
	v_sub_f16_e32 v50, v38, v50
	v_add_f16_e32 v35, v40, v122
	v_sub_f16_e32 v124, v48, v124
	v_fma_f16 v1, v39, 2.0, -v3
	v_fmac_f16_e32 v4, 0x39a8, v17
	v_fma_f16 v19, v36, 2.0, -v31
	v_sub_f16_e32 v36, v47, v109
	v_fmac_f16_e32 v33, 0x39a8, v45
	v_fmac_f16_e32 v34, 0xb9a8, v121
	v_pack_b32_f16 v37, v37, v94
	v_pack_b32_f16 v39, v96, v107
	v_fma_f16 v38, v38, 2.0, -v50
	v_fma_f16 v17, v40, 2.0, -v35
	v_pack_b32_f16 v40, v53, v51
	v_pack_b32_f16 v51, v146, v148
	v_fma_f16 v48, v48, 2.0, -v124
	v_fma_f16 v41, v41, 2.0, -v150
	;; [unrolled: 4-line block ×3, first 2 shown]
	v_fma_f16 v47, v47, 2.0, -v36
	v_fma_f16 v18, v18, 2.0, -v33
	;; [unrolled: 1-line block ×3, first 2 shown]
	global_wb scope:SCOPE_SE
	s_barrier_signal -1
	s_barrier_wait -1
	global_inv scope:SCOPE_SE
	ds_store_2addr_b32 v92, v37, v39 offset1:4
	ds_store_2addr_b32 v92, v40, v51 offset0:8 offset1:12
	ds_store_2addr_b32 v92, v53, v94 offset0:16 offset1:20
	v_pack_b32_f16 v37, v49, v105
	v_pack_b32_f16 v39, v108, v120
	v_pack_b32_f16 v38, v38, v43
	v_pack_b32_f16 v40, v44, v149
	v_pack_b32_f16 v43, v152, v48
	v_pack_b32_f16 v41, v41, v42
	v_pack_b32_f16 v42, v50, v54
	v_pack_b32_f16 v44, v145, v147
	v_pack_b32_f16 v48, v52, v124
	v_pack_b32_f16 v49, v150, v151
	ds_store_2addr_b32 v92, v37, v39 offset0:24 offset1:28
	ds_store_2addr_b32 v91, v38, v40 offset1:4
	ds_store_2addr_b32 v91, v43, v41 offset0:8 offset1:12
	ds_store_2addr_b32 v91, v42, v44 offset0:16 offset1:20
	;; [unrolled: 1-line block ×3, first 2 shown]
	s_and_saveexec_b32 s1, s0
	s_cbranch_execz .LBB0_29
; %bb.28:
	v_and_or_b32 v37, 0x2fe0, v90, v88
	v_perm_b32 v38, v19, v1, 0x5040100
	v_perm_b32 v39, v46, v2, 0x5040100
	;; [unrolled: 1-line block ×4, first 2 shown]
	v_lshlrev_b32_e32 v37, 2, v37
	v_perm_b32 v3, v31, v3, 0x5040100
	v_perm_b32 v4, v32, v4, 0x5040100
	;; [unrolled: 1-line block ×4, first 2 shown]
	ds_store_2addr_b32 v37, v38, v39 offset1:4
	ds_store_2addr_b32 v37, v40, v41 offset0:8 offset1:12
	ds_store_2addr_b32 v37, v3, v4 offset0:16 offset1:20
	;; [unrolled: 1-line block ×3, first 2 shown]
.LBB0_29:
	s_wait_alu 0xfffe
	s_or_b32 exec_lo, exec_lo, s1
	global_wb scope:SCOPE_SE
	s_wait_dscnt 0x0
	s_barrier_signal -1
	s_barrier_wait -1
	global_inv scope:SCOPE_SE
	ds_load_2addr_stride64_b32 v[31:32], v55 offset1:8
	ds_load_2addr_stride64_b32 v[43:44], v55 offset0:36 offset1:44
	ds_load_2addr_stride64_b32 v[41:42], v55 offset0:72 offset1:80
	;; [unrolled: 1-line block ×7, first 2 shown]
	s_and_saveexec_b32 s0, vcc_lo
	s_cbranch_execz .LBB0_31
; %bb.30:
	ds_load_2addr_stride64_b32 v[1:2], v55 offset0:32 offset1:68
	ds_load_2addr_stride64_b32 v[17:18], v55 offset0:104 offset1:140
	s_wait_dscnt 0x1
	v_lshrrev_b32_e32 v19, 16, v1
	v_lshrrev_b32_e32 v46, 16, v2
	s_wait_dscnt 0x0
	v_lshrrev_b32_e32 v47, 16, v17
	v_lshrrev_b32_e32 v45, 16, v18
.LBB0_31:
	s_wait_alu 0xfffe
	s_or_b32 exec_lo, exec_lo, s0
	s_wait_dscnt 0x6
	v_lshrrev_b32_e32 v49, 16, v43
	s_wait_dscnt 0x5
	v_lshrrev_b32_e32 v50, 16, v41
	;; [unrolled: 2-line block ×3, first 2 shown]
	v_lshrrev_b32_e32 v53, 16, v44
	v_mul_f16_e32 v99, v118, v43
	v_mul_f16_e32 v97, v118, v49
	;; [unrolled: 1-line block ×3, first 2 shown]
	v_lshrrev_b32_e32 v54, 16, v42
	v_lshrrev_b32_e32 v88, 16, v40
	s_wait_dscnt 0x2
	v_lshrrev_b32_e32 v91, 16, v37
	v_fmac_f16_e32 v97, v23, v43
	v_fma_f16 v43, v23, v49, -v99
	v_fmac_f16_e32 v104, v24, v41
	v_mul_f16_e32 v41, v117, v41
	v_mul_f16_e32 v49, v113, v51
	;; [unrolled: 1-line block ×5, first 2 shown]
	s_wait_dscnt 0x1
	v_lshrrev_b32_e32 v92, 16, v35
	s_wait_dscnt 0x0
	v_lshrrev_b32_e32 v94, 16, v33
	v_fma_f16 v41, v24, v50, -v41
	v_fmac_f16_e32 v49, v25, v39
	v_fma_f16 v39, v25, v51, -v99
	v_fmac_f16_e32 v107, v23, v44
	v_fma_f16 v44, v23, v53, -v108
	v_mul_f16_e32 v50, v117, v54
	v_mul_f16_e32 v51, v117, v42
	;; [unrolled: 1-line block ×5, first 2 shown]
	v_lshrrev_b32_e32 v96, 16, v38
	v_lshrrev_b32_e32 v105, 16, v36
	v_fmac_f16_e32 v50, v24, v42
	v_fma_f16 v42, v24, v54, -v51
	v_fmac_f16_e32 v53, v25, v40
	v_fma_f16 v40, v25, v88, -v99
	v_fmac_f16_e32 v108, v23, v37
	v_mul_f16_e32 v37, v118, v37
	v_mul_f16_e32 v51, v117, v92
	;; [unrolled: 1-line block ×5, first 2 shown]
	v_lshrrev_b32_e32 v106, 16, v34
	v_fma_f16 v37, v23, v91, -v37
	v_fmac_f16_e32 v51, v24, v35
	v_fma_f16 v35, v24, v92, -v54
	v_fmac_f16_e32 v88, v25, v33
	v_fma_f16 v33, v25, v94, -v99
	v_mul_f16_e32 v54, v118, v96
	v_mul_f16_e32 v91, v118, v38
	;; [unrolled: 1-line block ×4, first 2 shown]
	v_lshrrev_b32_e32 v48, 16, v31
	v_lshrrev_b32_e32 v52, 16, v32
	v_mul_f16_e32 v99, v113, v106
	v_fmac_f16_e32 v54, v23, v38
	v_fma_f16 v38, v23, v96, -v91
	v_fmac_f16_e32 v92, v24, v36
	v_fma_f16 v36, v24, v105, -v94
	v_mul_f16_e32 v96, v117, v47
	v_mul_f16_e32 v105, v117, v17
	v_fmac_f16_e32 v99, v25, v34
	v_mul_f16_e32 v34, v113, v34
	v_sub_f16_e32 v41, v48, v41
	v_fmac_f16_e32 v96, v24, v17
	v_fma_f16 v17, v24, v47, -v105
	v_mul_f16_e32 v24, v113, v45
	v_mul_f16_e32 v47, v113, v18
	v_sub_f16_e32 v42, v52, v42
	v_sub_f16_e32 v40, v44, v40
	v_mul_f16_e32 v91, v118, v46
	v_mul_f16_e32 v94, v118, v2
	v_fma_f16 v34, v25, v106, -v34
	v_fmac_f16_e32 v24, v25, v18
	v_fma_f16 v18, v25, v45, -v47
	v_fma_f16 v25, v48, 2.0, -v41
	v_fma_f16 v48, v52, 2.0, -v42
	;; [unrolled: 1-line block ×3, first 2 shown]
	v_fmac_f16_e32 v91, v23, v2
	v_fma_f16 v2, v23, v46, -v94
	v_sub_f16_e32 v46, v97, v49
	v_lshrrev_b32_e32 v90, 16, v3
	v_sub_f16_e32 v44, v48, v44
	v_sub_f16_e32 v45, v32, v50
	;; [unrolled: 1-line block ×3, first 2 shown]
	v_fma_f16 v49, v97, 2.0, -v46
	v_sub_f16_e32 v52, v41, v46
	v_fma_f16 v53, v48, 2.0, -v44
	v_sub_f16_e32 v46, v3, v51
	v_sub_f16_e32 v48, v108, v88
	v_add_f16_e32 v40, v45, v40
	v_sub_f16_e32 v35, v90, v35
	v_lshrrev_b32_e32 v95, 16, v4
	v_fma_f16 v3, v3, 2.0, -v46
	v_fma_f16 v51, v108, 2.0, -v48
	v_sub_f16_e32 v23, v31, v104
	v_sub_f16_e32 v39, v43, v39
	v_fma_f16 v32, v32, 2.0, -v45
	v_fma_f16 v50, v107, 2.0, -v47
	v_sub_f16_e32 v33, v37, v33
	v_sub_f16_e32 v88, v42, v47
	;; [unrolled: 4-line block ×3, first 2 shown]
	v_sub_f16_e32 v92, v54, v99
	v_fma_f16 v31, v31, 2.0, -v23
	v_fma_f16 v43, v43, 2.0, -v39
	;; [unrolled: 1-line block ×4, first 2 shown]
	v_sub_f16_e32 v36, v95, v36
	v_fma_f16 v3, v4, 2.0, -v45
	v_sub_f16_e32 v4, v38, v34
	v_fma_f16 v34, v54, 2.0, -v92
	v_sub_f16_e32 v17, v19, v17
	v_sub_f16_e32 v18, v2, v18
	;; [unrolled: 1-line block ×4, first 2 shown]
	v_add_f16_e32 v39, v23, v39
	v_sub_f16_e32 v37, v47, v37
	v_add_f16_e32 v33, v46, v33
	v_sub_f16_e32 v54, v35, v48
	v_fma_f16 v48, v95, 2.0, -v36
	v_fma_f16 v38, v38, 2.0, -v4
	v_sub_f16_e32 v34, v3, v34
	v_sub_f16_e32 v96, v1, v96
	;; [unrolled: 1-line block ×3, first 2 shown]
	v_fma_f16 v19, v19, 2.0, -v17
	v_fma_f16 v2, v2, 2.0, -v18
	v_sub_f16_e32 v50, v32, v50
	v_fma_f16 v31, v31, 2.0, -v49
	v_fma_f16 v25, v25, 2.0, -v43
	;; [unrolled: 1-line block ×6, first 2 shown]
	v_sub_f16_e32 v38, v48, v38
	v_fma_f16 v99, v3, 2.0, -v34
	v_add_f16_e32 v104, v45, v4
	v_fma_f16 v1, v1, 2.0, -v96
	v_fma_f16 v3, v91, 2.0, -v24
	v_sub_f16_e32 v46, v19, v2
	v_sub_f16_e32 v47, v17, v24
	v_fma_f16 v32, v32, 2.0, -v50
	v_fma_f16 v42, v42, 2.0, -v88
	v_sub_f16_e32 v92, v36, v92
	v_fma_f16 v91, v48, 2.0, -v38
	v_fma_f16 v105, v45, 2.0, -v104
	v_sub_f16_e32 v3, v1, v3
	v_add_f16_e32 v4, v96, v18
	v_fma_f16 v45, v19, 2.0, -v46
	v_fma_f16 v48, v17, 2.0, -v47
	v_pack_b32_f16 v17, v31, v25
	v_pack_b32_f16 v19, v23, v41
	v_fma_f16 v35, v35, 2.0, -v54
	v_pack_b32_f16 v23, v49, v43
	v_pack_b32_f16 v24, v39, v52
	;; [unrolled: 1-line block ×4, first 2 shown]
	v_fma_f16 v18, v36, 2.0, -v92
	v_fma_f16 v1, v1, 2.0, -v3
	;; [unrolled: 1-line block ×3, first 2 shown]
	global_wb scope:SCOPE_SE
	s_barrier_signal -1
	s_barrier_wait -1
	global_inv scope:SCOPE_SE
	ds_store_2addr_b32 v103, v17, v19 offset1:32
	ds_store_2addr_b32 v103, v23, v24 offset0:64 offset1:96
	ds_store_2addr_b32 v102, v25, v31 offset1:32
	v_pack_b32_f16 v17, v50, v44
	v_pack_b32_f16 v19, v40, v88
	;; [unrolled: 1-line block ×10, first 2 shown]
	ds_store_2addr_b32 v102, v17, v19 offset0:64 offset1:96
	ds_store_2addr_b32 v101, v23, v24 offset1:32
	ds_store_2addr_b32 v101, v25, v31 offset0:64 offset1:96
	ds_store_2addr_b32 v100, v32, v18 offset1:32
	ds_store_2addr_b32 v100, v33, v34 offset0:64 offset1:96
	s_and_saveexec_b32 s0, vcc_lo
	s_cbranch_execz .LBB0_33
; %bb.32:
	v_and_or_b32 v17, 0x2780, v89, v93
	v_perm_b32 v18, v45, v1, 0x5040100
	v_perm_b32 v19, v48, v2, 0x5040100
	;; [unrolled: 1-line block ×4, first 2 shown]
	v_lshlrev_b32_e32 v17, 2, v17
	ds_store_2addr_b32 v17, v18, v19 offset1:32
	ds_store_2addr_b32 v17, v23, v24 offset0:64 offset1:96
.LBB0_33:
	s_wait_alu 0xfffe
	s_or_b32 exec_lo, exec_lo, s0
	global_wb scope:SCOPE_SE
	s_wait_dscnt 0x0
	s_barrier_signal -1
	s_barrier_wait -1
	global_inv scope:SCOPE_SE
	ds_load_2addr_stride64_b32 v[23:24], v55 offset1:8
	ds_load_2addr_stride64_b32 v[41:42], v55 offset0:36 offset1:44
	ds_load_2addr_stride64_b32 v[39:40], v55 offset0:72 offset1:80
	;; [unrolled: 1-line block ×7, first 2 shown]
	s_and_saveexec_b32 s0, vcc_lo
	s_cbranch_execz .LBB0_35
; %bb.34:
	ds_load_2addr_stride64_b32 v[1:2], v55 offset0:32 offset1:68
	ds_load_2addr_stride64_b32 v[3:4], v55 offset0:104 offset1:140
	s_wait_dscnt 0x1
	v_lshrrev_b32_e32 v45, 16, v1
	v_lshrrev_b32_e32 v48, 16, v2
	s_wait_dscnt 0x0
	v_lshrrev_b32_e32 v46, 16, v3
	v_lshrrev_b32_e32 v47, 16, v4
.LBB0_35:
	s_wait_alu 0xfffe
	s_or_b32 exec_lo, exec_lo, s0
	s_wait_dscnt 0x6
	v_lshrrev_b32_e32 v50, 16, v41
	s_wait_dscnt 0x5
	v_lshrrev_b32_e32 v51, 16, v39
	;; [unrolled: 2-line block ×3, first 2 shown]
	v_lshrrev_b32_e32 v54, 16, v42
	v_lshrrev_b32_e32 v88, 16, v40
	v_mul_f16_e32 v100, v111, v50
	v_mul_f16_e32 v101, v111, v41
	;; [unrolled: 1-line block ×5, first 2 shown]
	v_lshrrev_b32_e32 v90, 16, v38
	s_wait_dscnt 0x2
	v_lshrrev_b32_e32 v92, 16, v35
	v_fmac_f16_e32 v100, v20, v41
	v_fma_f16 v41, v20, v50, -v101
	v_fmac_f16_e32 v102, v21, v39
	v_fma_f16 v39, v21, v51, -v103
	v_fmac_f16_e32 v104, v22, v37
	v_mul_f16_e32 v37, v110, v37
	v_mul_f16_e32 v50, v111, v54
	;; [unrolled: 1-line block ×5, first 2 shown]
	s_wait_dscnt 0x1
	v_lshrrev_b32_e32 v93, 16, v33
	s_wait_dscnt 0x0
	v_lshrrev_b32_e32 v94, 16, v31
	v_fma_f16 v37, v22, v52, -v37
	v_fmac_f16_e32 v50, v20, v42
	v_fma_f16 v42, v20, v54, -v51
	v_fmac_f16_e32 v101, v21, v40
	v_fma_f16 v40, v21, v88, -v103
	v_mul_f16_e32 v51, v110, v90
	v_mul_f16_e32 v52, v110, v38
	v_mul_f16_e32 v54, v111, v92
	v_mul_f16_e32 v88, v111, v35
	v_mul_f16_e32 v103, v112, v93
	v_lshrrev_b32_e32 v97, 16, v34
	v_fmac_f16_e32 v51, v22, v38
	v_fma_f16 v38, v22, v90, -v52
	v_fmac_f16_e32 v54, v20, v35
	v_fma_f16 v35, v20, v92, -v88
	v_mul_f16_e32 v52, v110, v94
	v_mul_f16_e32 v88, v110, v31
	v_lshrrev_b32_e32 v96, 16, v36
	v_fmac_f16_e32 v103, v21, v33
	v_mul_f16_e32 v33, v112, v33
	v_fmac_f16_e32 v52, v22, v31
	v_fma_f16 v31, v22, v94, -v88
	v_mul_f16_e32 v88, v112, v97
	v_lshrrev_b32_e32 v99, 16, v32
	v_mul_f16_e32 v90, v111, v96
	v_mul_f16_e32 v92, v111, v36
	v_fma_f16 v33, v21, v93, -v33
	v_sub_f16_e32 v93, v100, v104
	v_lshrrev_b32_e32 v49, 16, v23
	v_lshrrev_b32_e32 v53, 16, v24
	v_fmac_f16_e32 v88, v21, v34
	v_mul_f16_e32 v34, v112, v34
	v_fmac_f16_e32 v90, v20, v36
	v_fma_f16 v36, v20, v96, -v92
	v_fma_f16 v94, v100, 2.0, -v93
	v_mul_f16_e32 v96, v110, v99
	v_mul_f16_e32 v100, v110, v32
	v_sub_f16_e32 v92, v23, v102
	v_sub_f16_e32 v39, v49, v39
	;; [unrolled: 1-line block ×3, first 2 shown]
	v_lshrrev_b32_e32 v91, 16, v17
	v_fma_f16 v34, v21, v97, -v34
	v_sub_f16_e32 v97, v24, v101
	v_sub_f16_e32 v51, v50, v51
	v_sub_f16_e32 v40, v53, v40
	v_sub_f16_e32 v38, v42, v38
	v_lshrrev_b32_e32 v95, 16, v18
	v_fmac_f16_e32 v96, v22, v32
	v_fma_f16 v32, v22, v99, -v100
	v_fma_f16 v23, v23, 2.0, -v92
	v_fma_f16 v49, v49, 2.0, -v39
	;; [unrolled: 1-line block ×3, first 2 shown]
	v_sub_f16_e32 v99, v17, v103
	v_sub_f16_e32 v52, v54, v52
	;; [unrolled: 1-line block ×4, first 2 shown]
	v_fma_f16 v24, v24, 2.0, -v97
	v_fma_f16 v50, v50, 2.0, -v51
	;; [unrolled: 1-line block ×4, first 2 shown]
	v_sub_f16_e32 v88, v18, v88
	v_sub_f16_e32 v34, v95, v34
	;; [unrolled: 1-line block ×6, first 2 shown]
	v_add_f16_e32 v37, v92, v37
	v_sub_f16_e32 v93, v39, v93
	v_fma_f16 v17, v17, 2.0, -v99
	v_fma_f16 v54, v54, 2.0, -v52
	;; [unrolled: 1-line block ×4, first 2 shown]
	v_sub_f16_e32 v50, v24, v50
	v_sub_f16_e32 v42, v53, v42
	v_add_f16_e32 v38, v97, v38
	v_sub_f16_e32 v51, v40, v51
	v_fma_f16 v18, v18, 2.0, -v88
	v_fma_f16 v95, v95, 2.0, -v34
	;; [unrolled: 1-line block ×8, first 2 shown]
	v_sub_f16_e32 v54, v17, v54
	v_sub_f16_e32 v35, v91, v35
	v_add_f16_e32 v31, v99, v31
	v_sub_f16_e32 v52, v33, v52
	v_fma_f16 v24, v24, 2.0, -v50
	v_fma_f16 v53, v53, 2.0, -v42
	;; [unrolled: 1-line block ×4, first 2 shown]
	v_sub_f16_e32 v90, v18, v90
	v_sub_f16_e32 v36, v95, v36
	v_add_f16_e32 v32, v88, v32
	v_sub_f16_e32 v96, v34, v96
	v_pack_b32_f16 v23, v23, v49
	v_pack_b32_f16 v39, v92, v39
	v_fma_f16 v17, v17, 2.0, -v54
	v_fma_f16 v91, v91, 2.0, -v35
	;; [unrolled: 1-line block ×4, first 2 shown]
	v_pack_b32_f16 v41, v94, v41
	v_pack_b32_f16 v37, v37, v93
	;; [unrolled: 1-line block ×4, first 2 shown]
	v_fma_f16 v18, v18, 2.0, -v90
	v_fma_f16 v95, v95, 2.0, -v36
	;; [unrolled: 1-line block ×4, first 2 shown]
	v_or_b32_e32 v44, 0x3800, v55
	v_or_b32_e32 v19, 0x7800, v55
	;; [unrolled: 1-line block ×4, first 2 shown]
	global_wb scope:SCOPE_SE
	s_barrier_signal -1
	s_barrier_wait -1
	global_inv scope:SCOPE_SE
	ds_store_2addr_stride64_b32 v119, v23, v39 offset1:2
	ds_store_2addr_stride64_b32 v119, v41, v37 offset0:4 offset1:6
	ds_store_2addr_stride64_b32 v116, v24, v40 offset1:2
	v_pack_b32_f16 v23, v50, v42
	v_pack_b32_f16 v24, v38, v51
	;; [unrolled: 1-line block ×10, first 2 shown]
	ds_store_2addr_stride64_b32 v116, v23, v24 offset0:4 offset1:6
	ds_store_2addr_stride64_b32 v115, v17, v33 offset1:2
	ds_store_2addr_stride64_b32 v115, v35, v31 offset0:4 offset1:6
	ds_store_2addr_stride64_b32 v114, v18, v34 offset1:2
	ds_store_2addr_stride64_b32 v114, v36, v32 offset0:4 offset1:6
	s_and_saveexec_b32 s0, vcc_lo
	s_cbranch_execz .LBB0_37
; %bb.36:
	v_mul_f16_e32 v17, v112, v46
	v_mul_f16_e32 v18, v111, v2
	v_mul_f16_e32 v23, v112, v3
	v_mul_f16_e32 v24, v111, v48
	v_mul_f16_e32 v31, v110, v47
	v_fmac_f16_e32 v17, v21, v3
	v_mul_f16_e32 v3, v110, v4
	v_fma_f16 v18, v20, v48, -v18
	v_fmac_f16_e32 v24, v20, v2
	v_fmac_f16_e32 v31, v22, v4
	v_fma_f16 v2, v21, v46, -v23
	v_fma_f16 v3, v22, v47, -v3
	v_sub_f16_e32 v4, v1, v17
	v_and_or_b32 v22, 0x2600, v89, v98
	v_sub_f16_e32 v17, v24, v31
	v_sub_f16_e32 v2, v45, v2
	;; [unrolled: 1-line block ×3, first 2 shown]
	v_fma_f16 v1, v1, 2.0, -v4
	v_lshlrev_b32_e32 v22, 2, v22
	v_fma_f16 v20, v24, 2.0, -v17
	v_fma_f16 v21, v45, 2.0, -v2
	v_fma_f16 v18, v18, 2.0, -v3
	v_add_f16_e32 v3, v4, v3
	v_sub_f16_e32 v17, v2, v17
	v_sub_f16_e32 v20, v1, v20
	s_delay_alu instid0(VALU_DEP_4) | instskip(NEXT) | instid1(VALU_DEP_4)
	v_sub_f16_e32 v18, v21, v18
	v_fma_f16 v4, v4, 2.0, -v3
	s_delay_alu instid0(VALU_DEP_4) | instskip(NEXT) | instid1(VALU_DEP_4)
	v_fma_f16 v2, v2, 2.0, -v17
	v_fma_f16 v1, v1, 2.0, -v20
	v_pack_b32_f16 v3, v3, v17
	v_fma_f16 v21, v21, 2.0, -v18
	s_delay_alu instid0(VALU_DEP_4) | instskip(SKIP_1) | instid1(VALU_DEP_3)
	v_pack_b32_f16 v2, v4, v2
	v_pack_b32_f16 v4, v20, v18
	;; [unrolled: 1-line block ×3, first 2 shown]
	ds_store_2addr_stride64_b32 v22, v1, v2 offset1:2
	ds_store_2addr_stride64_b32 v22, v4, v3 offset0:4 offset1:6
.LBB0_37:
	s_wait_alu 0xfffe
	s_or_b32 exec_lo, exec_lo, s0
	global_wb scope:SCOPE_SE
	s_wait_dscnt 0x0
	s_barrier_signal -1
	s_barrier_wait -1
	global_inv scope:SCOPE_SE
	ds_load_2addr_stride64_b32 v[1:2], v55 offset1:8
	ds_load_2addr_stride64_b32 v[3:4], v55 offset0:32 offset1:48
	ds_load_2addr_stride64_b32 v[17:18], v55 offset0:96 offset1:104
	ds_load_b32 v24, v44
	ds_load_2addr_stride64_b32 v[20:21], v55 offset0:16 offset1:24
	ds_load_2addr_stride64_b32 v[22:23], v55 offset0:64 offset1:72
	;; [unrolled: 1-line block ×3, first 2 shown]
	ds_load_b32 v35, v19
	ds_load_2addr_stride64_b32 v[33:34], v55 offset0:80 offset1:88
	ds_load_b32 v36, v25
	ds_load_b32 v37, v43
	global_wb scope:SCOPE_SE
	s_wait_dscnt 0x0
	s_barrier_signal -1
	s_barrier_wait -1
	global_inv scope:SCOPE_SE
	s_mov_b32 s10, 0x1c71c71c
	s_mov_b32 s11, 0x3f1c71c7
	v_lshrrev_b32_e32 v38, 16, v1
	v_lshrrev_b32_e32 v39, 16, v4
	;; [unrolled: 1-line block ×5, first 2 shown]
	v_mul_f16_e64 v91, v143, v4
	v_mul_f16_e64 v89, v143, v39
	;; [unrolled: 1-line block ×3, first 2 shown]
	v_lshrrev_b32_e32 v47, 16, v22
	v_lshrrev_b32_e32 v48, 16, v31
	v_fma_f16 v39, v29, v39, -v91
	v_fmac_f16_e32 v89, v29, v4
	v_mul_f16_e64 v4, v141, v17
	v_mul_f16_e64 v91, v143, v42
	v_fmac_f16_e32 v93, v30, v17
	v_mul_f16_e64 v17, v143, v24
	v_lshrrev_b32_e32 v50, 16, v23
	v_fma_f16 v4, v30, v40, -v4
	v_mul_f16_e64 v40, v141, v45
	v_fmac_f16_e32 v91, v29, v24
	v_mul_f16_e64 v24, v141, v18
	v_fma_f16 v17, v29, v42, -v17
	v_mul_f16_e64 v42, v143, v47
	v_fmac_f16_e32 v40, v30, v18
	v_mul_f16_e64 v18, v143, v22
	v_lshrrev_b32_e32 v51, 16, v35
	v_fma_f16 v24, v30, v45, -v24
	v_mul_f16_e64 v45, v141, v48
	v_fmac_f16_e32 v42, v29, v22
	v_mul_f16_e64 v22, v141, v31
	v_fma_f16 v18, v29, v47, -v18
	v_mul_f16_e64 v47, v143, v50
	v_lshrrev_b32_e32 v53, 16, v33
	v_lshrrev_b32_e32 v54, 16, v32
	v_fmac_f16_e32 v45, v30, v31
	v_mul_f16_e64 v31, v143, v23
	v_fma_f16 v22, v30, v48, -v22
	v_mul_f16_e64 v48, v141, v51
	v_fmac_f16_e32 v47, v29, v23
	v_mul_f16_e64 v23, v141, v35
	v_lshrrev_b32_e32 v90, 16, v34
	v_fma_f16 v31, v29, v50, -v31
	v_mul_f16_e64 v50, v143, v53
	v_fmac_f16_e32 v48, v30, v35
	v_mul_f16_e64 v35, v143, v33
	v_fma_f16 v23, v30, v51, -v23
	v_mul_f16_e64 v51, v141, v54
	v_lshrrev_b32_e32 v92, 16, v37
	v_fmac_f16_e32 v50, v29, v33
	v_mul_f16_e64 v33, v141, v32
	v_fma_f16 v35, v29, v53, -v35
	v_mul_f16_e64 v53, v143, v90
	v_fmac_f16_e32 v51, v30, v32
	v_mul_f16_e64 v32, v143, v34
	v_fma_f16 v33, v30, v54, -v33
	v_mul_f16_e64 v54, v141, v92
	v_fmac_f16_e32 v53, v29, v34
	v_mul_f16_e64 v34, v141, v37
	v_fma_f16 v29, v29, v90, -v32
	v_add_f16_e32 v32, v89, v93
	v_fmac_f16_e32 v54, v30, v37
	v_add_f16_e32 v37, v1, v89
	v_fma_f16 v30, v30, v92, -v34
	v_add_f16_e32 v34, v39, v4
	v_fma_f16 v1, -0.5, v32, v1
	v_sub_f16_e32 v32, v39, v4
	v_lshrrev_b32_e32 v41, 16, v2
	v_add_f16_e32 v39, v38, v39
	v_fmac_f16_e32 v38, -0.5, v34
	v_sub_f16_e32 v34, v89, v93
	v_fmamk_f16 v89, v32, 0xbaee, v1
	v_fmac_f16_e32 v1, 0x3aee, v32
	v_add_f16_e32 v32, v91, v40
	v_add_f16_e32 v4, v39, v4
	v_fmamk_f16 v39, v34, 0x3aee, v38
	v_add_f16_e32 v90, v2, v91
	v_fmac_f16_e32 v38, 0xbaee, v34
	v_add_f16_e32 v34, v17, v24
	v_fmac_f16_e32 v2, -0.5, v32
	v_sub_f16_e32 v32, v17, v24
	v_add_f16_e32 v17, v41, v17
	v_lshrrev_b32_e32 v46, 16, v20
	v_fmac_f16_e32 v41, -0.5, v34
	v_sub_f16_e32 v34, v91, v40
	v_add_f16_e32 v90, v90, v40
	v_add_f16_e32 v17, v17, v24
	;; [unrolled: 1-line block ×3, first 2 shown]
	v_fmamk_f16 v40, v32, 0xbaee, v2
	v_fmac_f16_e32 v2, 0x3aee, v32
	v_fmamk_f16 v32, v34, 0x3aee, v41
	v_add_f16_e32 v91, v20, v42
	v_fmac_f16_e32 v41, 0xbaee, v34
	v_add_f16_e32 v34, v18, v22
	v_fma_f16 v20, -0.5, v24, v20
	v_sub_f16_e32 v24, v18, v22
	v_add_f16_e32 v18, v46, v18
	v_lshrrev_b32_e32 v49, 16, v21
	v_fmac_f16_e32 v46, -0.5, v34
	v_sub_f16_e32 v34, v42, v45
	v_add_f16_e32 v91, v91, v45
	v_add_f16_e32 v18, v18, v22
	;; [unrolled: 1-line block ×3, first 2 shown]
	v_fmamk_f16 v42, v24, 0xbaee, v20
	v_fmac_f16_e32 v20, 0x3aee, v24
	v_fmamk_f16 v24, v34, 0x3aee, v46
	v_add_f16_e32 v45, v21, v47
	v_fmac_f16_e32 v46, 0xbaee, v34
	v_add_f16_e32 v34, v31, v23
	v_fmac_f16_e32 v21, -0.5, v22
	v_sub_f16_e32 v22, v31, v23
	v_add_f16_e32 v31, v49, v31
	v_lshrrev_b32_e32 v52, 16, v3
	v_fmac_f16_e32 v49, -0.5, v34
	v_sub_f16_e32 v34, v47, v48
	v_fmamk_f16 v47, v22, 0xbaee, v21
	v_fmac_f16_e32 v21, 0x3aee, v22
	v_add_f16_e32 v22, v31, v23
	v_add_f16_e32 v23, v50, v51
	v_add_f16_e32 v45, v45, v48
	v_fmamk_f16 v31, v34, 0x3aee, v49
	v_add_f16_e32 v48, v3, v50
	v_fmac_f16_e32 v49, 0xbaee, v34
	v_add_f16_e32 v34, v35, v33
	v_fmac_f16_e32 v3, -0.5, v23
	v_sub_f16_e32 v23, v35, v33
	v_add_f16_e32 v35, v52, v35
	v_lshrrev_b32_e32 v88, 16, v36
	v_fmac_f16_e32 v52, -0.5, v34
	v_sub_f16_e32 v34, v50, v51
	v_fmamk_f16 v50, v23, 0xbaee, v3
	v_fmac_f16_e32 v3, 0x3aee, v23
	v_add_f16_e32 v23, v35, v33
	v_add_f16_e32 v33, v53, v54
	;; [unrolled: 1-line block ×4, first 2 shown]
	v_fmamk_f16 v35, v34, 0x3aee, v52
	v_fmac_f16_e32 v52, 0xbaee, v34
	v_add_f16_e32 v34, v29, v30
	v_add_f16_e32 v51, v36, v53
	v_fmac_f16_e32 v36, -0.5, v33
	v_sub_f16_e32 v33, v29, v30
	v_add_f16_e32 v29, v88, v29
	v_fmac_f16_e32 v88, -0.5, v34
	v_sub_f16_e32 v34, v53, v54
	v_pack_b32_f16 v4, v37, v4
	v_fmamk_f16 v53, v33, 0xbaee, v36
	v_fmac_f16_e32 v36, 0x3aee, v33
	v_pack_b32_f16 v33, v89, v39
	v_pack_b32_f16 v1, v1, v38
	;; [unrolled: 1-line block ×3, first 2 shown]
	ds_store_2addr_stride64_b32 v55, v4, v33 offset1:8
	ds_store_2addr_stride64_b32 v55, v1, v17 offset0:16 offset1:24
	v_pack_b32_f16 v1, v40, v32
	v_pack_b32_f16 v4, v91, v18
	;; [unrolled: 1-line block ×5, first 2 shown]
	v_add_f16_e32 v51, v51, v54
	v_add_f16_e32 v29, v29, v30
	v_fmamk_f16 v30, v34, 0x3aee, v88
	v_fmac_f16_e32 v88, 0xbaee, v34
	ds_store_2addr_stride64_b32 v55, v1, v4 offset0:32 offset1:48
	ds_store_b32 v44, v17
	ds_store_2addr_stride64_b32 v55, v18, v20 offset0:64 offset1:72
	v_pack_b32_f16 v4, v47, v31
	v_pack_b32_f16 v17, v21, v49
	;; [unrolled: 1-line block ×8, first 2 shown]
	ds_store_2addr_stride64_b32 v55, v4, v17 offset0:80 offset1:88
	v_pack_b32_f16 v4, v36, v88
	ds_store_2addr_stride64_b32 v55, v18, v20 offset0:96 offset1:104
	ds_store_b32 v19, v1
	ds_store_2addr_stride64_b32 v55, v3, v21 offset0:112 offset1:128
	ds_store_b32 v25, v2
	ds_store_b32 v43, v4
	global_wb scope:SCOPE_SE
	s_wait_dscnt 0x0
	s_barrier_signal -1
	s_barrier_wait -1
	global_inv scope:SCOPE_SE
	ds_load_2addr_stride64_b32 v[1:2], v55 offset1:8
	ds_load_2addr_stride64_b32 v[3:4], v55 offset0:16 offset1:24
	ds_load_2addr_stride64_b32 v[17:18], v55 offset0:32 offset1:48
	;; [unrolled: 1-line block ×4, first 2 shown]
	ds_load_b32 v24, v19
	ds_load_b32 v33, v25
	;; [unrolled: 1-line block ×4, first 2 shown]
	ds_load_2addr_stride64_b32 v[29:30], v55 offset0:80 offset1:88
	ds_load_2addr_stride64_b32 v[31:32], v55 offset0:112 offset1:128
	s_wait_dscnt 0xa
	v_lshrrev_b32_e32 v36, 16, v1
	s_wait_dscnt 0x9
	v_lshrrev_b32_e32 v37, 16, v4
	;; [unrolled: 2-line block ×4, first 2 shown]
	v_mul_f16_e64 v89, v144, v4
	s_wait_dscnt 0x6
	v_lshrrev_b32_e32 v40, 16, v22
	v_mul_f16_e64 v54, v144, v37
	v_mul_f16_e64 v91, v142, v38
	s_wait_dscnt 0x5
	v_lshrrev_b32_e32 v41, 16, v24
	v_lshrrev_b32_e32 v45, 16, v17
	s_wait_dscnt 0x2
	v_lshrrev_b32_e32 v46, 16, v35
	v_fmac_f16_e32 v54, v13, v4
	v_mul_f16_e64 v4, v142, v18
	v_fma_f16 v13, v13, v37, -v89
	v_mul_f16_e64 v37, v140, v39
	v_fmac_f16_e32 v91, v14, v18
	v_mul_f16_e64 v18, v140, v21
	v_fma_f16 v4, v14, v38, -v4
	v_mul_f16_e64 v14, v139, v40
	v_fmac_f16_e32 v37, v15, v21
	v_mul_f16_e64 v21, v139, v22
	v_fma_f16 v15, v15, v39, -v18
	v_mul_f16_e64 v18, v138, v41
	s_wait_dscnt 0x1
	v_lshrrev_b32_e32 v47, 16, v29
	v_fmac_f16_e32 v14, v16, v22
	v_mul_f16_e64 v22, v138, v24
	v_fma_f16 v16, v16, v40, -v21
	v_mul_f16_e64 v21, v137, v45
	v_fmac_f16_e32 v18, v127, v24
	v_mul_f16_e64 v24, v137, v17
	v_mul_f16_e64 v38, v136, v46
	v_lshrrev_b32_e32 v48, 16, v23
	s_wait_dscnt 0x0
	v_lshrrev_b32_e32 v49, 16, v32
	v_fmac_f16_e32 v21, v9, v17
	v_mul_f16_e64 v17, v136, v35
	v_fma_f16 v9, v9, v45, -v24
	v_mul_f16_e64 v24, v135, v47
	v_fmac_f16_e32 v38, v10, v35
	v_mul_f16_e64 v35, v135, v29
	v_lshrrev_b32_e32 v51, 16, v33
	v_fma_f16 v10, v10, v46, -v17
	v_mul_f16_e64 v17, v134, v48
	v_fmac_f16_e32 v24, v11, v29
	v_mul_f16_e64 v29, v134, v23
	v_fma_f16 v11, v11, v47, -v35
	v_mul_f16_e64 v35, v133, v49
	v_lshrrev_b32_e32 v52, 16, v20
	v_lshrrev_b32_e32 v53, 16, v30
	v_fmac_f16_e32 v17, v12, v23
	v_mul_f16_e64 v23, v133, v32
	v_fma_f16 v12, v12, v48, -v29
	v_mul_f16_e64 v29, v132, v51
	v_fmac_f16_e32 v35, v126, v32
	v_mul_f16_e64 v32, v132, v33
	v_lshrrev_b32_e32 v88, 16, v31
	v_mul_f16_e64 v39, v131, v52
	v_fmac_f16_e32 v29, v5, v33
	v_mul_f16_e64 v33, v131, v20
	v_fma_f16 v5, v5, v51, -v32
	v_mul_f16_e64 v32, v130, v53
	v_lshrrev_b32_e32 v90, 16, v34
	v_fmac_f16_e32 v39, v6, v20
	v_mul_f16_e64 v20, v130, v30
	v_fma_f16 v6, v6, v52, -v33
	v_mul_f16_e64 v33, v129, v88
	v_fmac_f16_e32 v32, v7, v30
	v_mul_f16_e64 v30, v129, v31
	v_fma_f16 v7, v7, v53, -v20
	v_mul_f16_e64 v20, v128, v90
	v_fmac_f16_e32 v33, v8, v31
	v_fma_f16 v22, v127, v41, -v22
	v_fma_f16 v8, v8, v88, -v30
	v_add_f16_e32 v30, v91, v14
	v_mul_f16_e64 v31, v128, v34
	v_fmac_f16_e32 v20, v125, v34
	v_add_f16_e32 v34, v1, v91
	v_add_f16_e32 v40, v4, v16
	v_fma_f16 v1, -0.5, v30, v1
	v_sub_f16_e32 v30, v4, v16
	v_add_f16_e32 v4, v36, v4
	v_add_f16_e32 v34, v34, v14
	v_fmac_f16_e32 v36, -0.5, v40
	v_sub_f16_e32 v14, v91, v14
	v_fmamk_f16 v40, v30, 0xbaee, v1
	v_fmac_f16_e32 v1, 0x3aee, v30
	v_add_f16_e32 v30, v15, v22
	v_add_f16_e32 v41, v37, v18
	;; [unrolled: 1-line block ×4, first 2 shown]
	v_fmamk_f16 v16, v14, 0x3aee, v36
	v_fmac_f16_e32 v13, -0.5, v30
	v_sub_f16_e32 v30, v37, v18
	v_add_f16_e32 v37, v54, v37
	v_fmac_f16_e32 v54, -0.5, v41
	v_sub_f16_e32 v15, v15, v22
	v_fmac_f16_e32 v36, 0xbaee, v14
	v_fmamk_f16 v14, v30, 0x3aee, v13
	v_fmac_f16_e32 v13, 0xbaee, v30
	v_add_f16_e32 v22, v45, v22
	v_fmamk_f16 v30, v15, 0xbaee, v54
	v_fmac_f16_e32 v54, 0x3aee, v15
	v_mul_f16_e32 v15, 0xbaee, v14
	v_mul_f16_e32 v14, 0.5, v14
	v_add_f16_e32 v18, v37, v18
	v_add_f16_e32 v46, v4, v22
	v_sub_f16_e32 v4, v4, v22
	v_add_f16_e32 v22, v38, v17
	v_fmac_f16_e32 v14, 0x3aee, v30
	v_lshrrev_b32_e32 v42, 16, v2
	v_fma_f16 v23, v126, v49, -v23
	v_mul_f16_e32 v37, 0xbaee, v13
	v_mul_f16_e32 v13, -0.5, v13
	v_add_f16_e32 v41, v34, v18
	v_add_f16_e32 v47, v16, v14
	v_sub_f16_e32 v18, v34, v18
	v_sub_f16_e32 v14, v16, v14
	v_add_f16_e32 v16, v2, v38
	v_add_f16_e32 v34, v10, v12
	v_fmac_f16_e32 v2, -0.5, v22
	v_sub_f16_e32 v22, v10, v12
	v_fmac_f16_e32 v37, -0.5, v54
	v_fmac_f16_e32 v13, 0x3aee, v54
	v_add_f16_e32 v10, v42, v10
	v_fmac_f16_e32 v42, -0.5, v34
	v_fmamk_f16 v34, v22, 0xbaee, v2
	v_fmac_f16_e32 v2, 0x3aee, v22
	v_add_f16_e32 v22, v11, v23
	v_add_f16_e32 v45, v1, v37
	;; [unrolled: 1-line block ×3, first 2 shown]
	v_sub_f16_e32 v1, v1, v37
	v_sub_f16_e32 v13, v36, v13
	v_add_f16_e32 v16, v16, v17
	v_sub_f16_e32 v17, v38, v17
	v_add_f16_e32 v36, v24, v35
	v_add_f16_e32 v37, v9, v11
	v_fmac_f16_e32 v9, -0.5, v22
	v_sub_f16_e32 v22, v24, v35
	v_add_f16_e32 v10, v10, v12
	v_fmamk_f16 v12, v17, 0x3aee, v42
	v_add_f16_e32 v24, v21, v24
	v_fmac_f16_e32 v21, -0.5, v36
	v_sub_f16_e32 v11, v11, v23
	v_fmac_f16_e32 v42, 0xbaee, v17
	v_fmamk_f16 v17, v22, 0x3aee, v9
	v_fmac_f16_e32 v9, 0xbaee, v22
	v_add_f16_e32 v22, v24, v35
	v_fmamk_f16 v24, v11, 0xbaee, v21
	v_fmac_f16_e32 v21, 0x3aee, v11
	v_mul_f16_e32 v11, 0xbaee, v17
	v_mul_f16_e32 v17, 0.5, v17
	v_add_f16_e32 v23, v37, v23
	v_add_f16_e32 v36, v16, v22
	v_sub_f16_e32 v16, v16, v22
	v_add_f16_e32 v22, v39, v33
	v_fmac_f16_e32 v17, 0x3aee, v24
	v_lshrrev_b32_e32 v50, 16, v3
	v_fma_f16 v31, v125, v90, -v31
	v_mul_f16_e32 v35, 0xbaee, v9
	v_add_f16_e32 v37, v10, v23
	v_add_f16_e32 v38, v12, v17
	v_sub_f16_e32 v10, v10, v23
	v_sub_f16_e32 v12, v12, v17
	v_add_f16_e32 v17, v3, v39
	v_add_f16_e32 v23, v6, v8
	v_fmac_f16_e32 v3, -0.5, v22
	v_sub_f16_e32 v22, v6, v8
	v_mul_f16_e32 v9, -0.5, v9
	v_fmac_f16_e32 v11, 0.5, v24
	v_fmac_f16_e32 v35, -0.5, v21
	v_add_f16_e32 v17, v17, v33
	v_add_f16_e32 v6, v50, v6
	v_fmac_f16_e32 v50, -0.5, v23
	v_sub_f16_e32 v23, v39, v33
	v_fmamk_f16 v33, v22, 0xbaee, v3
	v_fmac_f16_e32 v3, 0x3aee, v22
	v_add_f16_e32 v22, v7, v31
	v_fmac_f16_e32 v9, 0x3aee, v21
	v_add_f16_e32 v21, v34, v11
	v_add_f16_e32 v24, v2, v35
	v_sub_f16_e32 v11, v34, v11
	v_sub_f16_e32 v2, v2, v35
	v_add_f16_e32 v34, v32, v20
	v_add_f16_e32 v35, v5, v7
	v_fmac_f16_e32 v5, -0.5, v22
	v_sub_f16_e32 v22, v32, v20
	v_add_f16_e32 v6, v6, v8
	v_fmamk_f16 v8, v23, 0x3aee, v50
	v_add_f16_e32 v32, v29, v32
	v_fmac_f16_e32 v29, -0.5, v34
	v_sub_f16_e32 v7, v7, v31
	v_fmac_f16_e32 v50, 0xbaee, v23
	v_fmamk_f16 v23, v22, 0x3aee, v5
	v_fmac_f16_e32 v5, 0xbaee, v22
	v_add_f16_e32 v20, v32, v20
	v_fmamk_f16 v22, v7, 0xbaee, v29
	v_fmac_f16_e32 v29, 0x3aee, v7
	v_mul_f16_e32 v7, 0xbaee, v23
	v_mul_f16_e32 v32, 0xbaee, v5
	v_mul_f16_e32 v5, -0.5, v5
	v_mul_f16_e32 v23, 0.5, v23
	v_fmac_f16_e32 v15, 0.5, v30
	v_add_f16_e32 v31, v35, v31
	v_fmac_f16_e32 v32, -0.5, v29
	v_fmac_f16_e32 v5, 0x3aee, v29
	v_fmac_f16_e32 v7, 0.5, v22
	v_fmac_f16_e32 v23, 0x3aee, v22
	v_add_f16_e32 v30, v40, v15
	v_sub_f16_e32 v15, v40, v15
	v_add_f16_e32 v40, v42, v9
	v_sub_f16_e32 v9, v42, v9
	v_add_f16_e32 v34, v17, v20
	v_add_f16_e32 v29, v3, v32
	;; [unrolled: 1-line block ×4, first 2 shown]
	v_sub_f16_e32 v17, v17, v20
	v_sub_f16_e32 v6, v6, v31
	v_add_f16_e32 v22, v33, v7
	v_add_f16_e32 v39, v8, v23
	v_sub_f16_e32 v7, v33, v7
	v_sub_f16_e32 v8, v8, v23
	;; [unrolled: 1-line block ×4, first 2 shown]
	v_pack_b32_f16 v20, v41, v46
	v_pack_b32_f16 v23, v30, v47
	;; [unrolled: 1-line block ×18, first 2 shown]
	ds_store_2addr_stride64_b32 v55, v20, v18 offset1:8
	ds_store_2addr_stride64_b32 v55, v15, v30 offset0:32 offset1:48
	ds_store_b32 v44, v21
	ds_store_2addr_stride64_b32 v55, v14, v11 offset0:96 offset1:104
	ds_store_2addr_stride64_b32 v55, v12, v23 offset0:16 offset1:24
	;; [unrolled: 1-line block ×5, first 2 shown]
	ds_store_b32 v19, v1
	ds_store_b32 v25, v8
	;; [unrolled: 1-line block ×3, first 2 shown]
	global_wb scope:SCOPE_SE
	s_wait_dscnt 0x0
	s_barrier_signal -1
	s_barrier_wait -1
	global_inv scope:SCOPE_SE
	ds_load_2addr_stride64_b32 v[3:4], v55 offset1:8
	s_wait_dscnt 0x0
	v_lshrrev_b32_e32 v5, 16, v3
	s_delay_alu instid0(VALU_DEP_1) | instskip(NEXT) | instid1(VALU_DEP_1)
	v_mul_f16_e32 v1, v87, v5
	v_fmac_f16_e32 v1, v84, v3
	v_mul_f16_e32 v3, v87, v3
	s_delay_alu instid0(VALU_DEP_2) | instskip(NEXT) | instid1(VALU_DEP_2)
	v_cvt_f32_f16_e32 v1, v1
	v_fma_f16 v3, v84, v5, -v3
	s_delay_alu instid0(VALU_DEP_2) | instskip(NEXT) | instid1(VALU_DEP_2)
	v_cvt_f64_f32_e32 v[1:2], v1
	v_cvt_f32_f16_e32 v3, v3
	s_delay_alu instid0(VALU_DEP_1) | instskip(SKIP_1) | instid1(VALU_DEP_3)
	v_cvt_f64_f32_e32 v[5:6], v3
	s_wait_alu 0xfffe
	v_mul_f64_e32 v[7:8], s[10:11], v[1:2]
	ds_load_2addr_stride64_b32 v[2:3], v55 offset0:36 offset1:44
	v_mul_f64_e32 v[5:6], s[10:11], v[5:6]
	s_wait_dscnt 0x0
	v_lshrrev_b32_e32 v1, 16, v2
	s_delay_alu instid0(VALU_DEP_1) | instskip(NEXT) | instid1(VALU_DEP_1)
	v_mul_f16_e32 v9, v86, v1
	v_fmac_f16_e32 v9, v85, v2
	v_mul_f16_e32 v2, v86, v2
	s_delay_alu instid0(VALU_DEP_2) | instskip(NEXT) | instid1(VALU_DEP_2)
	v_cvt_f32_f16_e32 v9, v9
	v_fma_f16 v1, v85, v1, -v2
	v_and_or_b32 v7, 0x1ff, v8, v7
	v_lshrrev_b32_e32 v11, 8, v8
	v_bfe_u32 v13, v8, 20, 11
	v_cvt_f64_f32_e32 v[9:10], v9
	v_cvt_f32_f16_e32 v1, v1
	v_cmp_ne_u32_e64 s0, 0, v7
	v_and_or_b32 v5, 0x1ff, v6, v5
	v_lshrrev_b32_e32 v16, 8, v6
	v_bfe_u32 v17, v6, 20, 11
	v_add_nc_u32_e32 v20, 0xfffffc10, v13
	s_wait_alu 0xf1ff
	v_cndmask_b32_e64 v7, 0, 1, s0
	v_cmp_ne_u32_e64 s0, 0, v5
	v_lshrrev_b32_e32 v8, 16, v8
	s_delay_alu instid0(VALU_DEP_3) | instskip(SKIP_3) | instid1(VALU_DEP_3)
	v_and_or_b32 v7, 0xffe, v11, v7
	v_sub_nc_u32_e32 v11, 0x3f1, v13
	s_wait_alu 0xf1ff
	v_cndmask_b32_e64 v5, 0, 1, s0
	v_or_b32_e32 v14, 0x1000, v7
	s_delay_alu instid0(VALU_DEP_3) | instskip(NEXT) | instid1(VALU_DEP_3)
	v_med3_i32 v11, v11, 0, 13
	v_and_or_b32 v19, 0xffe, v16, v5
	v_sub_nc_u32_e32 v5, 0x3f1, v17
	v_lshl_or_b32 v13, v20, 12, v7
	s_delay_alu instid0(VALU_DEP_4) | instskip(NEXT) | instid1(VALU_DEP_4)
	v_lshrrev_b32_e32 v15, v11, v14
	v_or_b32_e32 v16, 0x1000, v19
	s_delay_alu instid0(VALU_DEP_4) | instskip(NEXT) | instid1(VALU_DEP_3)
	v_med3_i32 v5, v5, 0, 13
	v_lshlrev_b32_e32 v18, v11, v15
	v_mad_co_u64_u32 v[11:12], null, s6, v28, 0
	s_delay_alu instid0(VALU_DEP_2) | instskip(SKIP_1) | instid1(VALU_DEP_1)
	v_cmp_ne_u32_e64 s0, v18, v14
	s_wait_alu 0xf1ff
	v_cndmask_b32_e64 v14, 0, 1, s0
	v_mul_f64_e32 v[9:10], s[10:11], v[9:10]
	v_cmp_gt_i32_e64 s0, 1, v20
	s_delay_alu instid0(VALU_DEP_3) | instskip(SKIP_2) | instid1(VALU_DEP_2)
	v_or_b32_e32 v2, v15, v14
	v_lshrrev_b32_e32 v15, v5, v16
	s_wait_alu 0xf1ff
	v_cndmask_b32_e64 v18, v13, v2, s0
	s_delay_alu instid0(VALU_DEP_2) | instskip(SKIP_1) | instid1(VALU_DEP_3)
	v_dual_mov_b32 v5, v12 :: v_dual_lshlrev_b32 v2, v5, v15
	v_cvt_f64_f32_e32 v[13:14], v1
	v_and_b32_e32 v12, 7, v18
	s_delay_alu instid0(VALU_DEP_3)
	v_cmp_ne_u32_e64 s0, v2, v16
	ds_load_2addr_stride64_b32 v[1:2], v55 offset0:72 offset1:80
	v_cmp_eq_u32_e64 s1, 3, v12
	s_wait_alu 0xf1ff
	v_cndmask_b32_e64 v16, 0, 1, s0
	v_cmp_lt_i32_e64 s0, 5, v12
	s_delay_alu instid0(VALU_DEP_2) | instskip(SKIP_4) | instid1(VALU_DEP_2)
	v_or_b32_e32 v12, v15, v16
	v_mad_co_u64_u32 v[15:16], null, s7, v28, v[5:6]
	v_add_nc_u32_e32 v21, 0xfffffc10, v17
	v_lshrrev_b32_e32 v5, 2, v18
	s_or_b32 s0, s1, s0
	v_lshl_or_b32 v17, v21, 12, v19
	v_cmp_gt_i32_e64 s2, 1, v21
	s_wait_alu 0xfffe
	v_add_co_ci_u32_e64 v5, s0, 0, v5, s0
	v_cmp_ne_u32_e64 s0, 0, v7
	s_wait_dscnt 0x0
	v_lshrrev_b32_e32 v22, 16, v1
	s_wait_alu 0xf1ff
	v_cndmask_b32_e64 v16, v17, v12, s2
	v_mov_b32_e32 v12, v15
	v_and_or_b32 v9, 0x1ff, v10, v9
	v_cndmask_b32_e64 v7, 0, 1, s0
	v_cmp_gt_i32_e64 s0, 31, v20
	v_and_b32_e32 v15, 7, v16
	v_bfe_u32 v23, v10, 20, 11
	v_cmp_ne_u32_e64 s2, 0, v9
	v_lshrrev_b32_e32 v17, 8, v10
	s_wait_alu 0xf1ff
	v_cndmask_b32_e64 v5, 0x7c00, v5, s0
	v_cmp_lt_i32_e64 s0, 5, v15
	v_cmp_eq_u32_e64 s1, 3, v15
	v_lshrrev_b32_e32 v15, 2, v16
	v_mul_f16_e32 v16, v83, v22
	v_cndmask_b32_e64 v9, 0, 1, s2
	v_mul_f64_e32 v[13:14], s[10:11], v[13:14]
	s_or_b32 s0, s1, s0
	v_lshl_or_b32 v7, v7, 9, 0x7c00
	v_fmac_f16_e32 v16, v81, v1
	s_wait_alu 0xfffe
	v_add_co_ci_u32_e64 v18, s0, 0, v15, s0
	v_sub_nc_u32_e32 v15, 0x3f1, v23
	v_and_or_b32 v9, 0xffe, v17, v9
	v_cvt_f32_f16_e32 v16, v16
	v_cmp_ne_u32_e64 s0, 0, v19
	v_lshlrev_b64_e32 v[11:12], 2, v[11:12]
	v_med3_i32 v24, v15, 0, 13
	v_or_b32_e32 v19, 0x1000, v9
	v_cvt_f64_f32_e32 v[15:16], v16
	s_wait_alu 0xf1ff
	v_cndmask_b32_e64 v17, 0, 1, s0
	v_cmp_gt_i32_e64 s0, 31, v21
	v_lshrrev_b32_e32 v10, 16, v10
	v_lshrrev_b32_e32 v29, v24, v19
	s_delay_alu instid0(VALU_DEP_4)
	v_lshl_or_b32 v28, v17, 9, 0x7c00
	s_wait_alu 0xf1ff
	v_cndmask_b32_e64 v25, 0x7c00, v18, s0
	v_cmp_eq_u32_e64 s0, 0x40f, v20
	v_mad_co_u64_u32 v[17:18], null, s4, v0, 0
	v_lshlrev_b32_e32 v20, v24, v29
	v_lshrrev_b32_e32 v24, 16, v6
	s_wait_alu 0xf1ff
	v_cndmask_b32_e64 v7, v5, v7, s0
	v_cmp_eq_u32_e64 s0, 0x40f, v21
	v_mov_b32_e32 v5, v18
	s_delay_alu instid0(VALU_DEP_3) | instskip(SKIP_1) | instid1(VALU_DEP_3)
	v_and_or_b32 v7, 0x8000, v8, v7
	s_wait_alu 0xf1ff
	v_cndmask_b32_e64 v21, v25, v28, s0
	v_cmp_ne_u32_e64 s0, v20, v19
	v_add_nc_u32_e32 v19, 0xfffffc10, v23
	v_mad_co_u64_u32 v[5:6], null, s5, v0, v[5:6]
	v_mul_f16_e32 v0, v83, v1
	s_wait_alu 0xf1ff
	v_cndmask_b32_e64 v18, 0, 1, s0
	v_lshl_or_b32 v6, v19, 12, v9
	v_cmp_gt_i32_e64 s0, 1, v19
	v_and_or_b32 v20, 0x8000, v24, v21
	v_fma_f16 v0, v81, v22, -v0
	v_or_b32_e32 v1, v29, v18
	v_mov_b32_e32 v18, v5
	v_lshrrev_b32_e32 v24, 8, v14
	v_bfe_u32 v25, v14, 20, 11
	v_cvt_f32_f16_e32 v0, v0
	s_wait_alu 0xf1ff
	v_cndmask_b32_e64 v21, v6, v1, s0
	v_and_or_b32 v1, 0x1ff, v14, v13
	v_and_b32_e32 v13, 0xffff, v7
	v_mul_f64_e32 v[7:8], s[10:11], v[15:16]
	v_cvt_f64_f32_e32 v[5:6], v0
	v_and_b32_e32 v22, 7, v21
	v_cmp_ne_u32_e64 s0, 0, v1
	v_lshl_or_b32 v13, v20, 16, v13
	v_sub_nc_u32_e32 v15, 0x3f1, v25
	ds_load_2addr_stride64_b32 v[0:1], v55 offset0:108 offset1:116
	v_cmp_eq_u32_e64 s1, 3, v22
	s_wait_alu 0xf1ff
	v_cndmask_b32_e64 v23, 0, 1, s0
	v_cmp_lt_i32_e64 s0, 5, v22
	v_add_co_u32 v22, s2, s8, v11
	v_med3_i32 v15, v15, 0, 13
	s_delay_alu instid0(VALU_DEP_4)
	v_and_or_b32 v20, 0xffe, v24, v23
	s_wait_alu 0xf1ff
	v_add_co_ci_u32_e64 v23, s2, s9, v12, s2
	v_lshrrev_b32_e32 v21, 2, v21
	v_lshlrev_b64_e32 v[11:12], 2, v[17:18]
	v_or_b32_e32 v16, 0x1000, v20
	s_or_b32 s0, s1, s0
	v_lshrrev_b32_e32 v14, 16, v14
	s_wait_alu 0xfffe
	v_add_co_ci_u32_e64 v17, s0, 0, v21, s0
	v_lshrrev_b32_e32 v24, v15, v16
	v_add_co_u32 v11, s0, v22, v11
	s_wait_alu 0xf1ff
	v_add_co_ci_u32_e64 v12, s0, v23, v12, s0
	s_delay_alu instid0(VALU_DEP_3)
	v_lshlrev_b32_e32 v15, v15, v24
	v_cmp_gt_i32_e64 s0, 31, v19
	s_wait_dscnt 0x0
	v_lshrrev_b32_e32 v18, 16, v0
	v_add_nc_u32_e32 v22, 0xfffffc10, v25
	global_store_b32 v[11:12], v13, off
	s_wait_alu 0xf1ff
	v_cndmask_b32_e64 v17, 0x7c00, v17, s0
	v_cmp_ne_u32_e64 s0, v15, v16
	v_mul_f16_e32 v21, v82, v18
	v_lshl_or_b32 v16, v22, 12, v20
	v_and_or_b32 v7, 0x1ff, v8, v7
	v_mul_f64_e32 v[5:6], s[10:11], v[5:6]
	s_wait_alu 0xf1ff
	v_cndmask_b32_e64 v15, 0, 1, s0
	v_cmp_ne_u32_e64 s0, 0, v9
	v_fmac_f16_e32 v21, v80, v0
	v_mul_f16_e32 v0, v82, v0
	s_delay_alu instid0(VALU_DEP_4)
	v_or_b32_e32 v15, v24, v15
	s_wait_alu 0xf1ff
	v_cndmask_b32_e64 v9, 0, 1, s0
	v_cmp_gt_i32_e64 s0, 1, v22
	v_cvt_f32_f16_e32 v21, v21
	v_bfe_u32 v24, v8, 20, 11
	v_fma_f16 v0, v80, v18, -v0
	v_lshl_or_b32 v9, v9, 9, 0x7c00
	s_wait_alu 0xf1ff
	v_cndmask_b32_e64 v23, v16, v15, s0
	v_cmp_ne_u32_e64 s0, 0, v7
	v_cvt_f64_f32_e32 v[15:16], v21
	v_lshrrev_b32_e32 v21, 8, v8
	v_cvt_f32_f16_e32 v0, v0
	s_wait_alu 0xf1ff
	v_cndmask_b32_e64 v7, 0, 1, s0
	v_cmp_eq_u32_e64 s0, 0x40f, v19
	v_sub_nc_u32_e32 v19, 0x3f1, v24
	s_delay_alu instid0(VALU_DEP_3) | instskip(SKIP_1) | instid1(VALU_DEP_3)
	v_and_or_b32 v7, 0xffe, v21, v7
	s_wait_alu 0xf1ff
	v_cndmask_b32_e64 v9, v17, v9, s0
	v_and_b32_e32 v17, 7, v23
	v_med3_i32 v19, v19, 0, 13
	v_or_b32_e32 v21, 0x1000, v7
	s_delay_alu instid0(VALU_DEP_3) | instskip(SKIP_4) | instid1(VALU_DEP_4)
	v_cmp_lt_i32_e64 s0, 5, v17
	v_cmp_eq_u32_e64 s1, 3, v17
	v_and_or_b32 v17, 0x8000, v10, v9
	v_lshrrev_b32_e32 v9, 2, v23
	v_lshrrev_b32_e32 v18, v19, v21
	s_or_b32 s0, s1, s0
	v_and_or_b32 v5, 0x1ff, v6, v5
	s_wait_alu 0xfffe
	v_add_co_ci_u32_e64 v23, s0, 0, v9, s0
	v_cmp_ne_u32_e64 s0, 0, v20
	v_lshlrev_b32_e32 v19, v19, v18
	v_cvt_f64_f32_e32 v[9:10], v0
	s_wait_alu 0xf1ff
	s_delay_alu instid0(VALU_DEP_3) | instskip(SKIP_1) | instid1(VALU_DEP_2)
	v_cndmask_b32_e64 v20, 0, 1, s0
	v_cmp_gt_i32_e64 s0, 31, v22
	v_lshl_or_b32 v20, v20, 9, 0x7c00
	s_wait_alu 0xf1ff
	s_delay_alu instid0(VALU_DEP_2)
	v_cndmask_b32_e64 v0, 0x7c00, v23, s0
	v_cmp_ne_u32_e64 s0, v19, v21
	v_add_nc_u32_e32 v21, 0xfffffc10, v24
	v_lshrrev_b32_e32 v23, 8, v6
	v_bfe_u32 v24, v6, 20, 11
	v_mul_f64_e32 v[15:16], s[10:11], v[15:16]
	s_wait_alu 0xf1ff
	v_cndmask_b32_e64 v19, 0, 1, s0
	v_cmp_ne_u32_e64 s0, 0, v5
	v_lshrrev_b32_e32 v6, 16, v6
	s_delay_alu instid0(VALU_DEP_3) | instskip(SKIP_1) | instid1(VALU_DEP_3)
	v_or_b32_e32 v18, v18, v19
	s_wait_alu 0xf1ff
	v_cndmask_b32_e64 v5, 0, 1, s0
	v_cmp_eq_u32_e64 s0, 0x40f, v22
	v_lshl_or_b32 v19, v21, 12, v7
	s_delay_alu instid0(VALU_DEP_3) | instskip(SKIP_1) | instid1(VALU_DEP_3)
	v_and_or_b32 v5, 0xffe, v23, v5
	s_wait_alu 0xf1ff
	v_cndmask_b32_e64 v0, v0, v20, s0
	v_sub_nc_u32_e32 v20, 0x3f1, v24
	v_cmp_gt_i32_e64 s0, 1, v21
	v_or_b32_e32 v22, 0x1000, v5
	s_delay_alu instid0(VALU_DEP_4) | instskip(NEXT) | instid1(VALU_DEP_4)
	v_and_or_b32 v0, 0x8000, v14, v0
	v_med3_i32 v20, v20, 0, 13
	s_wait_alu 0xf1ff
	v_cndmask_b32_e64 v18, v19, v18, s0
	v_and_b32_e32 v14, 0xffff, v17
	s_mul_u64 s[0:1], s[4:5], 0x900
	v_lshrrev_b32_e32 v19, 16, v4
	v_lshrrev_b32_e32 v17, v20, v22
	v_and_b32_e32 v13, 7, v18
	v_lshl_or_b32 v0, v0, 16, v14
	s_wait_alu 0xfffe
	s_lshl_b64 s[6:7], s[0:1], 2
	v_mul_f64_e32 v[9:10], s[10:11], v[9:10]
	v_lshlrev_b32_e32 v14, v20, v17
	v_cmp_lt_i32_e64 s0, 5, v13
	v_cmp_eq_u32_e64 s1, 3, v13
	v_lshrrev_b32_e32 v13, 2, v18
	v_add_nc_u32_e32 v18, 0xfffffc10, v24
	v_cmp_ne_u32_e64 s2, v14, v22
	v_mul_f16_e32 v20, v79, v19
	s_or_b32 s0, s1, s0
	s_wait_alu 0xfffe
	v_add_co_ci_u32_e64 v13, s0, 0, v13, s0
	v_cndmask_b32_e64 v14, 0, 1, s2
	v_cmp_ne_u32_e64 s0, 0, v7
	v_fmac_f16_e32 v20, v77, v4
	v_lshrrev_b32_e32 v23, 8, v16
	v_bfe_u32 v24, v16, 20, 11
	v_or_b32_e32 v14, v17, v14
	v_lshl_or_b32 v17, v18, 12, v5
	s_wait_alu 0xf1ff
	v_cndmask_b32_e64 v7, 0, 1, s0
	v_cmp_gt_i32_e64 s0, 1, v18
	v_mul_f16_e32 v4, v79, v4
	s_delay_alu instid0(VALU_DEP_3) | instskip(SKIP_1) | instid1(VALU_DEP_3)
	v_lshl_or_b32 v7, v7, 9, 0x7c00
	s_wait_alu 0xf1ff
	v_cndmask_b32_e64 v17, v17, v14, s0
	v_and_or_b32 v14, 0x1ff, v16, v15
	v_cmp_gt_i32_e64 s0, 31, v21
	v_fma_f16 v4, v77, v19, -v4
	v_lshrrev_b32_e32 v16, 16, v16
	v_and_b32_e32 v22, 7, v17
	s_wait_alu 0xf1ff
	v_cndmask_b32_e64 v15, 0x7c00, v13, s0
	v_cmp_ne_u32_e64 s0, 0, v14
	v_cvt_f32_f16_e32 v13, v20
	v_cmp_eq_u32_e64 s1, 3, v22
	s_wait_alu 0xf1ff
	s_delay_alu instid0(VALU_DEP_3)
	v_cndmask_b32_e64 v20, 0, 1, s0
	v_cmp_eq_u32_e64 s0, 0x40f, v21
	v_cvt_f64_f32_e32 v[13:14], v13
	v_lshrrev_b32_e32 v21, 16, v8
	v_lshrrev_b32_e32 v8, 2, v17
	v_and_or_b32 v20, 0xffe, v23, v20
	s_wait_alu 0xf1ff
	v_cndmask_b32_e64 v15, v15, v7, s0
	v_cmp_lt_i32_e64 s0, 5, v22
	v_sub_nc_u32_e32 v7, 0x3f1, v24
	v_and_or_b32 v9, 0x1ff, v10, v9
	v_or_b32_e32 v17, 0x1000, v20
	v_bfe_u32 v25, v10, 20, 11
	s_or_b32 s0, s1, s0
	v_med3_i32 v7, v7, 0, 13
	s_wait_alu 0xfffe
	v_add_co_ci_u32_e64 v8, s0, 0, v8, s0
	v_cmp_ne_u32_e64 s0, 0, v5
	v_lshrrev_b32_e32 v23, 8, v10
	v_lshrrev_b32_e32 v22, v7, v17
	v_lshrrev_b32_e32 v10, 16, v10
	s_wait_alu 0xf1ff
	v_cndmask_b32_e64 v5, 0, 1, s0
	v_cmp_gt_i32_e64 s0, 31, v18
	v_lshlrev_b32_e32 v7, v7, v22
	s_delay_alu instid0(VALU_DEP_3) | instskip(SKIP_1) | instid1(VALU_DEP_3)
	v_lshl_or_b32 v5, v5, 9, 0x7c00
	s_wait_alu 0xf1ff
	v_cndmask_b32_e64 v8, 0x7c00, v8, s0
	v_cmp_ne_u32_e64 s0, 0, v9
	s_wait_alu 0xf1ff
	s_delay_alu instid0(VALU_DEP_1) | instskip(SKIP_1) | instid1(VALU_DEP_2)
	v_cndmask_b32_e64 v9, 0, 1, s0
	v_cmp_eq_u32_e64 s0, 0x40f, v18
	v_and_or_b32 v19, 0xffe, v23, v9
	s_wait_alu 0xf1ff
	s_delay_alu instid0(VALU_DEP_2)
	v_cndmask_b32_e64 v18, v8, v5, s0
	v_cmp_ne_u32_e64 s0, v7, v17
	v_cvt_f32_f16_e32 v7, v4
	v_sub_nc_u32_e32 v5, 0x3f1, v25
	v_add_nc_u32_e32 v17, 0xfffffc10, v24
	v_or_b32_e32 v23, 0x1000, v19
	s_wait_alu 0xf1ff
	v_cndmask_b32_e64 v9, 0, 1, s0
	v_cvt_f64_f32_e32 v[7:8], v7
	v_med3_i32 v24, v5, 0, 13
	v_mul_f64_e32 v[4:5], s[10:11], v[13:14]
	v_and_or_b32 v13, 0x8000, v21, v15
	v_or_b32_e32 v9, v22, v9
	v_lshl_or_b32 v14, v17, 12, v20
	v_lshrrev_b32_e32 v15, v24, v23
	v_cmp_gt_i32_e64 s0, 1, v17
	v_and_or_b32 v6, 0x8000, v6, v18
	v_and_b32_e32 v13, 0xffff, v13
	v_add_nc_u32_e32 v22, 0xfffffc10, v25
	s_wait_alu 0xf1ff
	v_cndmask_b32_e64 v9, v14, v9, s0
	v_lshlrev_b32_e32 v14, v24, v15
	v_add_co_u32 v11, s0, v11, s6
	s_wait_alu 0xf1ff
	v_add_co_ci_u32_e64 v12, s0, s7, v12, s0
	s_delay_alu instid0(VALU_DEP_3)
	v_cmp_ne_u32_e64 s0, v14, v23
	v_lshl_or_b32 v18, v6, 16, v13
	v_and_b32_e32 v6, 7, v9
	v_lshrrev_b32_e32 v23, 16, v3
	v_cmp_gt_i32_e64 s2, 1, v22
	s_wait_alu 0xf1ff
	v_cndmask_b32_e64 v21, 0, 1, s0
	v_add_co_u32 v13, s0, v11, s6
	s_wait_alu 0xf1ff
	v_add_co_ci_u32_e64 v14, s0, s7, v12, s0
	v_cmp_lt_i32_e64 s0, 5, v6
	v_cmp_eq_u32_e64 s1, 3, v6
	v_or_b32_e32 v15, v15, v21
	v_lshl_or_b32 v21, v22, 12, v19
	v_lshrrev_b32_e32 v6, 2, v9
	v_mul_f16_e32 v9, v78, v23
	s_or_b32 s0, s1, s0
	s_clause 0x1
	global_store_b32 v[11:12], v0, off
	global_store_b32 v[13:14], v18, off
	v_cndmask_b32_e64 v15, v21, v15, s2
	s_wait_alu 0xfffe
	v_add_co_ci_u32_e64 v21, s0, 0, v6, s0
	v_fmac_f16_e32 v9, v76, v3
	v_mul_f64_e32 v[6:7], s[10:11], v[7:8]
	v_and_or_b32 v4, 0x1ff, v5, v4
	v_and_b32_e32 v24, 7, v15
	v_cmp_gt_i32_e64 s0, 31, v17
	v_cvt_f32_f16_e32 v8, v9
	v_lshrrev_b32_e32 v15, 2, v15
	v_cmp_ne_u32_e64 s2, 0, v4
	v_cmp_eq_u32_e64 s1, 3, v24
	s_wait_alu 0xf1ff
	v_cndmask_b32_e64 v21, 0x7c00, v21, s0
	v_cmp_lt_i32_e64 s0, 5, v24
	v_cvt_f64_f32_e32 v[8:9], v8
	v_cndmask_b32_e64 v4, 0, 1, s2
	v_lshrrev_b32_e32 v24, 8, v5
	v_bfe_u32 v25, v5, 20, 11
	s_or_b32 s0, s1, s0
	v_cmp_ne_u32_e64 s2, 0, v20
	s_wait_alu 0xfffe
	v_add_co_ci_u32_e64 v15, s0, 0, v15, s0
	v_and_or_b32 v24, 0xffe, v24, v4
	v_sub_nc_u32_e32 v4, 0x3f1, v25
	v_cmp_ne_u32_e64 s0, 0, v19
	s_wait_alu 0xf1ff
	v_cndmask_b32_e64 v20, 0, 1, s2
	v_mul_f16_e32 v3, v78, v3
	v_or_b32_e32 v28, 0x1000, v24
	v_med3_i32 v4, v4, 0, 13
	v_cndmask_b32_e64 v19, 0, 1, s0
	v_cmp_gt_i32_e64 s0, 31, v22
	v_lshl_or_b32 v20, v20, 9, 0x7c00
	v_fma_f16 v3, v76, v23, -v3
	v_lshrrev_b32_e32 v29, v4, v28
	v_lshl_or_b32 v19, v19, 9, 0x7c00
	s_wait_alu 0xf1ff
	v_cndmask_b32_e64 v15, 0x7c00, v15, s0
	v_cmp_eq_u32_e64 s0, 0x40f, v17
	v_lshrrev_b32_e32 v5, 16, v5
	v_lshlrev_b32_e32 v4, v4, v29
	s_wait_alu 0xf1ff
	s_delay_alu instid0(VALU_DEP_3)
	v_cndmask_b32_e64 v17, v21, v20, s0
	v_cmp_eq_u32_e64 s0, 0x40f, v22
	v_and_or_b32 v6, 0x1ff, v7, v6
	v_lshrrev_b32_e32 v20, 8, v7
	v_bfe_u32 v21, v7, 20, 11
	v_and_or_b32 v16, 0x8000, v16, v17
	s_wait_alu 0xf1ff
	v_cndmask_b32_e64 v15, v15, v19, s0
	v_cmp_ne_u32_e64 s0, v4, v28
	v_cvt_f32_f16_e32 v19, v3
	v_add_nc_u32_e32 v17, 0xfffffc10, v25
	v_and_b32_e32 v16, 0xffff, v16
	v_and_or_b32 v10, 0x8000, v10, v15
	s_wait_alu 0xf1ff
	v_cndmask_b32_e64 v4, 0, 1, s0
	v_cmp_ne_u32_e64 s0, 0, v6
	v_lshl_or_b32 v22, v17, 12, v24
	v_lshrrev_b32_e32 v7, 16, v7
	v_lshl_or_b32 v0, v10, 16, v16
	v_or_b32_e32 v15, v29, v4
	v_mul_f64_e32 v[3:4], s[10:11], v[8:9]
	v_cvt_f64_f32_e32 v[8:9], v19
	s_wait_alu 0xf1ff
	v_cndmask_b32_e64 v6, 0, 1, s0
	v_sub_nc_u32_e32 v19, 0x3f1, v21
	v_cmp_gt_i32_e64 s0, 1, v17
	s_delay_alu instid0(VALU_DEP_3) | instskip(NEXT) | instid1(VALU_DEP_3)
	v_and_or_b32 v6, 0xffe, v20, v6
	v_med3_i32 v19, v19, 0, 13
	s_wait_alu 0xf1ff
	s_delay_alu instid0(VALU_DEP_3)
	v_cndmask_b32_e64 v15, v22, v15, s0
	v_add_co_u32 v10, s0, v13, s6
	v_or_b32_e32 v20, 0x1000, v6
	s_wait_alu 0xf1ff
	v_add_co_ci_u32_e64 v11, s0, s7, v14, s0
	v_and_b32_e32 v12, 7, v15
	v_lshrrev_b32_e32 v14, 16, v2
	v_lshrrev_b32_e32 v16, v19, v20
	global_store_b32 v[10:11], v0, off
	v_cmp_lt_i32_e64 s0, 5, v12
	v_cmp_eq_u32_e64 s1, 3, v12
	v_lshlrev_b32_e32 v13, v19, v16
	v_lshrrev_b32_e32 v12, 2, v15
	v_add_nc_u32_e32 v15, 0xfffffc10, v21
	v_mul_f16_e32 v18, v75, v14
	s_or_b32 s0, s1, s0
	v_cmp_ne_u32_e64 s2, v13, v20
	s_wait_alu 0xfffe
	v_add_co_ci_u32_e64 v12, s0, 0, v12, s0
	v_cmp_gt_i32_e64 s0, 31, v17
	v_fmac_f16_e32 v18, v73, v2
	s_wait_alu 0xf1ff
	v_cndmask_b32_e64 v13, 0, 1, s2
	v_cmp_eq_u32_e64 s2, 0x40f, v17
	v_mul_f16_e32 v2, v75, v2
	v_cndmask_b32_e64 v19, 0x7c00, v12, s0
	v_cmp_gt_i32_e64 s0, 1, v15
	v_or_b32_e32 v13, v16, v13
	v_lshl_or_b32 v16, v15, 12, v6
	v_mul_f64_e32 v[8:9], s[10:11], v[8:9]
	v_and_or_b32 v3, 0x1ff, v4, v3
	v_cvt_f32_f16_e32 v12, v18
	v_lshrrev_b32_e32 v21, 8, v4
	s_wait_alu 0xf1ff
	v_cndmask_b32_e64 v16, v16, v13, s0
	v_cmp_ne_u32_e64 s0, 0, v24
	v_bfe_u32 v22, v4, 20, 11
	v_cvt_f64_f32_e32 v[12:13], v12
	v_fma_f16 v2, v73, v14, -v2
	v_and_b32_e32 v20, 7, v16
	s_wait_alu 0xf1ff
	v_cndmask_b32_e64 v18, 0, 1, s0
	v_cmp_ne_u32_e64 s0, 0, v3
	v_lshrrev_b32_e32 v16, 2, v16
	v_cvt_f32_f16_e32 v2, v2
	v_cmp_eq_u32_e64 s1, 3, v20
	v_lshl_or_b32 v18, v18, 9, 0x7c00
	s_wait_alu 0xf1ff
	v_cndmask_b32_e64 v3, 0, 1, s0
	v_cmp_lt_i32_e64 s0, 5, v20
	v_lshrrev_b32_e32 v4, 16, v4
	v_cndmask_b32_e64 v17, v19, v18, s2
	s_delay_alu instid0(VALU_DEP_4)
	v_and_or_b32 v20, 0xffe, v21, v3
	v_sub_nc_u32_e32 v3, 0x3f1, v22
	s_or_b32 s0, s1, s0
	s_wait_alu 0xfffe
	v_add_co_ci_u32_e64 v16, s0, 0, v16, s0
	v_or_b32_e32 v18, 0x1000, v20
	v_med3_i32 v3, v3, 0, 13
	v_cmp_ne_u32_e64 s0, 0, v6
	v_and_or_b32 v0, 0x8000, v5, v17
	s_delay_alu instid0(VALU_DEP_3) | instskip(SKIP_1) | instid1(VALU_DEP_3)
	v_lshrrev_b32_e32 v19, v3, v18
	s_wait_alu 0xf1ff
	v_cndmask_b32_e64 v6, 0, 1, s0
	v_cmp_gt_i32_e64 s0, 31, v15
	v_and_b32_e32 v0, 0xffff, v0
	v_lshlrev_b32_e32 v3, v3, v19
	s_delay_alu instid0(VALU_DEP_4)
	v_lshl_or_b32 v6, v6, 9, 0x7c00
	s_wait_alu 0xf1ff
	v_cndmask_b32_e64 v16, 0x7c00, v16, s0
	v_cmp_eq_u32_e64 s0, 0x40f, v15
	v_and_or_b32 v8, 0x1ff, v9, v8
	s_wait_alu 0xf1ff
	s_delay_alu instid0(VALU_DEP_2)
	v_cndmask_b32_e64 v15, v16, v6, s0
	v_cmp_ne_u32_e64 s0, v3, v18
	v_add_nc_u32_e32 v16, 0xfffffc10, v22
	v_mul_f64_e32 v[5:6], s[10:11], v[12:13]
	v_lshrrev_b32_e32 v12, 8, v9
	v_bfe_u32 v13, v9, 20, 11
	s_wait_alu 0xf1ff
	v_cndmask_b32_e64 v3, 0, 1, s0
	v_cmp_ne_u32_e64 s0, 0, v8
	v_lshl_or_b32 v17, v16, 12, v20
	v_and_or_b32 v7, 0x8000, v7, v15
	v_lshrrev_b32_e32 v9, 16, v9
	v_or_b32_e32 v3, v19, v3
	s_wait_alu 0xf1ff
	v_cndmask_b32_e64 v8, 0, 1, s0
	v_cmp_gt_i32_e64 s0, 1, v16
	s_delay_alu instid0(VALU_DEP_2) | instskip(SKIP_2) | instid1(VALU_DEP_3)
	v_and_or_b32 v12, 0xffe, v12, v8
	v_sub_nc_u32_e32 v8, 0x3f1, v13
	s_wait_alu 0xf1ff
	v_cndmask_b32_e64 v14, v17, v3, s0
	v_cvt_f64_f32_e32 v[2:3], v2
	s_movk_i32 s0, 0xe700
	v_or_b32_e32 v17, 0x1000, v12
	v_med3_i32 v8, v8, 0, 13
	v_and_b32_e32 v15, 7, v14
	s_mov_b32 s1, -1
	v_add_nc_u32_e32 v13, 0xfffffc10, v13
	s_wait_alu 0xfffe
	s_mul_u64 s[2:3], s[4:5], s[0:1]
	v_lshrrev_b32_e32 v18, v8, v17
	v_cmp_lt_i32_e64 s0, 5, v15
	v_cmp_eq_u32_e64 s1, 3, v15
	v_lshl_or_b32 v15, v7, 16, v0
	v_lshrrev_b32_e32 v0, 2, v14
	v_lshlrev_b32_e32 v7, v8, v18
	v_lshrrev_b32_e32 v14, 16, v1
	s_or_b32 s0, s1, s0
	v_lshl_or_b32 v8, v13, 12, v12
	s_wait_alu 0xfffe
	v_add_co_ci_u32_e64 v0, s0, 0, v0, s0
	v_cmp_ne_u32_e64 s0, v7, v17
	v_mul_f16_e32 v17, v74, v14
	v_and_or_b32 v5, 0x1ff, v6, v5
	v_bfe_u32 v21, v6, 20, 11
	s_lshl_b64 s[4:5], s[2:3], 2
	v_cndmask_b32_e64 v7, 0, 1, s0
	v_cmp_gt_i32_e64 s0, 31, v16
	v_fmac_f16_e32 v17, v72, v1
	v_mul_f16_e32 v1, v74, v1
	s_delay_alu instid0(VALU_DEP_4)
	v_or_b32_e32 v7, v18, v7
	s_wait_alu 0xf1ff
	v_cndmask_b32_e64 v0, 0x7c00, v0, s0
	v_cmp_ne_u32_e64 s0, 0, v20
	v_lshrrev_b32_e32 v20, 8, v6
	v_fma_f16 v1, v72, v14, -v1
	v_lshrrev_b32_e32 v6, 16, v6
	s_wait_alu 0xf1ff
	v_cndmask_b32_e64 v18, 0, 1, s0
	v_cmp_gt_i32_e64 s0, 1, v13
	v_cvt_f32_f16_e32 v1, v1
	s_wait_alu 0xf1ff
	s_delay_alu instid0(VALU_DEP_2)
	v_cndmask_b32_e64 v19, v8, v7, s0
	v_cmp_ne_u32_e64 s0, 0, v5
	v_mul_f64_e32 v[7:8], s[10:11], v[2:3]
	v_cvt_f32_f16_e32 v2, v17
	v_lshl_or_b32 v17, v18, 9, 0x7c00
	v_and_b32_e32 v18, 7, v19
	s_wait_alu 0xf1ff
	v_cndmask_b32_e64 v5, 0, 1, s0
	v_cmp_eq_u32_e64 s0, 0x40f, v16
	v_cvt_f64_f32_e32 v[2:3], v2
	v_cmp_eq_u32_e64 s1, 3, v18
	s_delay_alu instid0(VALU_DEP_4)
	v_and_or_b32 v20, 0xffe, v20, v5
	v_sub_nc_u32_e32 v5, 0x3f1, v21
	s_wait_alu 0xf1ff
	v_cndmask_b32_e64 v16, v0, v17, s0
	v_cmp_lt_i32_e64 s0, 5, v18
	v_or_b32_e32 v17, 0x1000, v20
	v_med3_i32 v0, v5, 0, 13
	v_lshrrev_b32_e32 v5, 2, v19
	s_delay_alu instid0(VALU_DEP_4) | instskip(SKIP_1) | instid1(VALU_DEP_3)
	s_or_b32 s0, s1, s0
	v_and_or_b32 v4, 0x8000, v4, v16
	v_lshrrev_b32_e32 v18, v0, v17
	s_wait_alu 0xfffe
	v_add_co_ci_u32_e64 v5, s0, 0, v5, s0
	v_cmp_ne_u32_e64 s0, 0, v12
	v_and_b32_e32 v16, 0xffff, v4
	v_lshlrev_b32_e32 v14, v0, v18
	v_cvt_f64_f32_e32 v[0:1], v1
	s_wait_alu 0xf1ff
	v_cndmask_b32_e64 v12, 0, 1, s0
	v_cmp_gt_i32_e64 s0, 31, v13
	s_delay_alu instid0(VALU_DEP_2) | instskip(SKIP_1) | instid1(VALU_DEP_2)
	v_lshl_or_b32 v12, v12, 9, 0x7c00
	s_wait_alu 0xf1ff
	v_cndmask_b32_e64 v5, 0x7c00, v5, s0
	v_cmp_ne_u32_e64 s0, v14, v17
	v_add_nc_u32_e32 v17, 0xfffffc10, v21
	v_and_or_b32 v7, 0x1ff, v8, v7
	s_wait_alu 0xf1ff
	s_delay_alu instid0(VALU_DEP_3) | instskip(SKIP_3) | instid1(VALU_DEP_2)
	v_cndmask_b32_e64 v14, 0, 1, s0
	v_cmp_eq_u32_e64 s0, 0x40f, v13
	v_lshl_or_b32 v13, v17, 12, v20
	s_wait_alu 0xf1ff
	v_cndmask_b32_e64 v5, v5, v12, s0
	v_or_b32_e32 v12, v18, v14
	v_cmp_gt_i32_e64 s0, 1, v17
	v_bfe_u32 v18, v8, 20, 11
	s_delay_alu instid0(VALU_DEP_4)
	v_and_or_b32 v14, 0x8000, v9, v5
	v_mul_f64_e32 v[4:5], s[10:11], v[2:3]
	s_wait_alu 0xf1ff
	v_cndmask_b32_e64 v13, v13, v12, s0
	v_cmp_ne_u32_e64 s0, 0, v7
	v_lshrrev_b32_e32 v2, 8, v8
	v_lshl_or_b32 v16, v14, 16, v16
	v_lshrrev_b32_e32 v8, 16, v8
	v_lshrrev_b32_e32 v22, 2, v13
	s_wait_alu 0xf1ff
	v_cndmask_b32_e64 v7, 0, 1, s0
	v_add_co_u32 v9, s0, v10, s4
	s_wait_alu 0xf1ff
	v_add_co_ci_u32_e64 v10, s0, s5, v11, s0
	s_delay_alu instid0(VALU_DEP_3)
	v_and_or_b32 v19, 0xffe, v2, v7
	ds_load_2addr_stride64_b32 v[2:3], v55 offset0:16 offset1:24
	v_and_b32_e32 v11, 7, v13
	v_sub_nc_u32_e32 v7, 0x3f1, v18
	v_mul_f64_e32 v[13:14], s[10:11], v[0:1]
	v_or_b32_e32 v21, 0x1000, v19
	s_delay_alu instid0(VALU_DEP_4)
	v_cmp_lt_i32_e64 s0, 5, v11
	v_cmp_eq_u32_e64 s1, 3, v11
	v_med3_i32 v7, v7, 0, 13
	v_add_co_u32 v11, s2, v9, s6
	s_wait_alu 0xf1ff
	v_add_co_ci_u32_e64 v12, s2, s7, v10, s2
	s_or_b32 s0, s1, s0
	v_lshrrev_b32_e32 v0, v7, v21
	s_wait_alu 0xfffe
	v_add_co_ci_u32_e64 v1, s0, 0, v22, s0
	v_cmp_gt_i32_e64 s0, 31, v17
	global_store_b32 v[9:10], v15, off
	global_store_b32 v[11:12], v16, off
	v_lshlrev_b32_e32 v7, v7, v0
	s_wait_dscnt 0x0
	v_lshrrev_b32_e32 v10, 16, v2
	v_add_nc_u32_e32 v16, 0xfffffc10, v18
	s_wait_alu 0xf1ff
	v_cndmask_b32_e64 v9, 0x7c00, v1, s0
	v_cmp_ne_u32_e64 s0, 0, v20
	v_mul_f16_e32 v15, v71, v10
	v_and_or_b32 v4, 0x1ff, v5, v4
	v_bfe_u32 v20, v5, 20, 11
	s_wait_alu 0xf1ff
	v_cndmask_b32_e64 v1, 0, 1, s0
	v_cmp_ne_u32_e64 s0, v7, v21
	v_fmac_f16_e32 v15, v69, v2
	v_mul_f16_e32 v2, v71, v2
	s_delay_alu instid0(VALU_DEP_4)
	v_lshl_or_b32 v18, v1, 9, 0x7c00
	s_wait_alu 0xf1ff
	v_cndmask_b32_e64 v7, 0, 1, s0
	v_cmp_ne_u32_e64 s0, 0, v4
	v_lshl_or_b32 v1, v16, 12, v19
	v_cvt_f32_f16_e32 v15, v15
	v_fma_f16 v2, v69, v10, -v2
	v_or_b32_e32 v0, v0, v7
	s_wait_alu 0xf1ff
	v_cndmask_b32_e64 v4, 0, 1, s0
	v_cmp_gt_i32_e64 s0, 1, v16
	v_lshrrev_b32_e32 v7, 8, v5
	v_and_or_b32 v13, 0x1ff, v14, v13
	v_cvt_f32_f16_e32 v2, v2
	s_wait_alu 0xf1ff
	v_cndmask_b32_e64 v21, v1, v0, s0
	v_cvt_f64_f32_e32 v[0:1], v15
	v_and_or_b32 v4, 0xffe, v7, v4
	v_sub_nc_u32_e32 v7, 0x3f1, v20
	v_cmp_eq_u32_e64 s0, 0x40f, v17
	v_and_b32_e32 v15, 7, v21
	v_cmp_ne_u32_e64 s2, 0, v13
	v_or_b32_e32 v17, 0x1000, v4
	v_med3_i32 v7, v7, 0, 13
	s_wait_alu 0xf1ff
	v_cndmask_b32_e64 v9, v9, v18, s0
	v_cmp_lt_i32_e64 s0, 5, v15
	v_cmp_eq_u32_e64 s1, 3, v15
	v_lshrrev_b32_e32 v13, 8, v14
	v_bfe_u32 v15, v14, 20, 11
	v_and_or_b32 v18, 0x8000, v6, v9
	v_lshrrev_b32_e32 v6, v7, v17
	v_cndmask_b32_e64 v9, 0, 1, s2
	v_lshrrev_b32_e32 v21, 2, v21
	s_or_b32 s0, s1, s0
	v_and_b32_e32 v18, 0xffff, v18
	v_lshlrev_b32_e32 v7, v7, v6
	v_and_or_b32 v13, 0xffe, v13, v9
	v_sub_nc_u32_e32 v9, 0x3f1, v15
	s_wait_alu 0xfffe
	v_add_co_ci_u32_e64 v21, s0, 0, v21, s0
	v_cmp_ne_u32_e64 s2, v7, v17
	v_add_nc_u32_e32 v17, 0xfffffc10, v20
	v_or_b32_e32 v20, 0x1000, v13
	v_med3_i32 v22, v9, 0, 13
	v_cmp_ne_u32_e64 s0, 0, v19
	s_wait_alu 0xf1ff
	v_cndmask_b32_e64 v7, 0, 1, s2
	v_lshl_or_b32 v24, v17, 12, v4
	v_add_nc_u32_e32 v15, 0xfffffc10, v15
	v_lshrrev_b32_e32 v25, v22, v20
	s_delay_alu instid0(VALU_DEP_4)
	v_or_b32_e32 v23, v6, v7
	v_cvt_f64_f32_e32 v[6:7], v2
	v_cndmask_b32_e64 v2, 0, 1, s0
	v_cmp_gt_i32_e64 s0, 1, v17
	v_mul_f64_e32 v[9:10], s[10:11], v[0:1]
	v_lshlrev_b32_e32 v1, v22, v25
	v_cmp_gt_i32_e64 s2, 1, v15
	v_lshl_or_b32 v2, v2, 9, 0x7c00
	s_wait_alu 0xf1ff
	v_cndmask_b32_e64 v0, v24, v23, s0
	v_cmp_gt_i32_e64 s0, 31, v16
	s_wait_alu 0xf1ff
	s_delay_alu instid0(VALU_DEP_1) | instskip(SKIP_4) | instid1(VALU_DEP_3)
	v_cndmask_b32_e64 v19, 0x7c00, v21, s0
	v_cmp_ne_u32_e64 s0, v1, v20
	v_and_b32_e32 v21, 7, v0
	v_lshrrev_b32_e32 v0, 2, v0
	s_wait_alu 0xf1ff
	v_cndmask_b32_e64 v20, 0, 1, s0
	v_cmp_eq_u32_e64 s0, 0x40f, v16
	v_cmp_eq_u32_e64 s1, 3, v21
	s_wait_alu 0xf1ff
	s_delay_alu instid0(VALU_DEP_2)
	v_cndmask_b32_e64 v16, v19, v2, s0
	ds_load_2addr_stride64_b32 v[1:2], v55 offset0:52 offset1:60
	v_cmp_lt_i32_e64 s0, 5, v21
	v_or_b32_e32 v19, v25, v20
	v_lshl_or_b32 v20, v15, 12, v13
	v_and_or_b32 v16, 0x8000, v8, v16
	s_delay_alu instid0(VALU_DEP_4)
	s_or_b32 s0, s1, s0
	s_wait_alu 0xfffe
	v_add_co_ci_u32_e64 v0, s0, 0, v0, s0
	v_cndmask_b32_e64 v19, v20, v19, s2
	v_cmp_gt_i32_e64 s0, 31, v17
	v_mul_f64_e32 v[6:7], s[10:11], v[6:7]
	s_delay_alu instid0(VALU_DEP_3) | instskip(SKIP_1) | instid1(VALU_DEP_3)
	v_and_b32_e32 v8, 7, v19
	s_wait_alu 0xf1ff
	v_cndmask_b32_e64 v0, 0x7c00, v0, s0
	v_cmp_ne_u32_e64 s0, 0, v4
	v_and_or_b32 v9, 0x1ff, v10, v9
	v_bfe_u32 v22, v10, 20, 11
	s_wait_dscnt 0x0
	v_lshrrev_b32_e32 v20, 16, v1
	v_cmp_eq_u32_e64 s1, 3, v8
	s_wait_alu 0xf1ff
	v_cndmask_b32_e64 v4, 0, 1, s0
	v_cmp_lt_i32_e64 s0, 5, v8
	v_lshrrev_b32_e32 v8, 2, v19
	v_mul_f16_e32 v19, v70, v20
	v_sub_nc_u32_e32 v24, 0x3f1, v22
	v_lshl_or_b32 v4, v4, 9, 0x7c00
	s_or_b32 s0, s1, s0
	s_wait_alu 0xfffe
	v_add_co_ci_u32_e64 v21, s0, 0, v8, s0
	v_fmac_f16_e32 v19, v67, v1
	v_cmp_ne_u32_e64 s0, 0, v9
	v_lshrrev_b32_e32 v9, 8, v10
	v_med3_i32 v24, v24, 0, 13
	v_mul_f16_e32 v1, v70, v1
	v_cvt_f32_f16_e32 v19, v19
	s_wait_alu 0xf1ff
	v_cndmask_b32_e64 v8, 0, 1, s0
	v_cmp_ne_u32_e64 s0, 0, v13
	v_lshrrev_b32_e32 v10, 16, v10
	v_fma_f16 v1, v67, v20, -v1
	s_delay_alu instid0(VALU_DEP_4)
	v_and_or_b32 v23, 0xffe, v9, v8
	v_cvt_f64_f32_e32 v[8:9], v19
	s_wait_alu 0xf1ff
	v_cndmask_b32_e64 v13, 0, 1, s0
	v_cmp_gt_i32_e64 s0, 31, v15
	v_cvt_f32_f16_e32 v1, v1
	s_delay_alu instid0(VALU_DEP_3) | instskip(SKIP_1) | instid1(VALU_DEP_3)
	v_lshl_or_b32 v13, v13, 9, 0x7c00
	s_wait_alu 0xf1ff
	v_cndmask_b32_e64 v19, 0x7c00, v21, s0
	v_or_b32_e32 v21, 0x1000, v23
	v_cmp_eq_u32_e64 s0, 0x40f, v17
	s_delay_alu instid0(VALU_DEP_2) | instskip(SKIP_1) | instid1(VALU_DEP_2)
	v_lshrrev_b32_e32 v17, v24, v21
	s_wait_alu 0xf1ff
	v_cndmask_b32_e64 v0, v0, v4, s0
	v_cmp_eq_u32_e64 s0, 0x40f, v15
	v_lshrrev_b32_e32 v4, 16, v5
	v_lshrrev_b32_e32 v15, 8, v7
	s_wait_alu 0xf1ff
	s_delay_alu instid0(VALU_DEP_3)
	v_cndmask_b32_e64 v5, v19, v13, s0
	v_lshrrev_b32_e32 v13, 16, v14
	v_lshlrev_b32_e32 v14, v24, v17
	v_and_or_b32 v0, 0x8000, v4, v0
	v_and_or_b32 v4, 0x1ff, v7, v6
	v_lshl_or_b32 v19, v16, 16, v18
	v_and_or_b32 v13, 0x8000, v13, v5
	v_cmp_ne_u32_e64 s0, v14, v21
	v_add_nc_u32_e32 v18, 0xfffffc10, v22
	v_bfe_u32 v16, v7, 20, 11
	v_and_b32_e32 v20, 0xffff, v0
	v_lshrrev_b32_e32 v7, 16, v7
	s_wait_alu 0xf1ff
	v_cndmask_b32_e64 v6, 0, 1, s0
	v_cmp_ne_u32_e64 s0, 0, v4
	v_cvt_f64_f32_e32 v[4:5], v1
	ds_load_2addr_stride64_b32 v[0:1], v55 offset0:88 offset1:96
	v_lshl_or_b32 v20, v13, 16, v20
	v_or_b32_e32 v6, v17, v6
	s_wait_alu 0xf1ff
	v_cndmask_b32_e64 v14, 0, 1, s0
	v_lshl_or_b32 v17, v18, 12, v23
	v_cmp_gt_i32_e64 s0, 1, v18
	v_mul_f64_e32 v[8:9], s[10:11], v[8:9]
	s_delay_alu instid0(VALU_DEP_4)
	v_and_or_b32 v21, 0xffe, v15, v14
	v_sub_nc_u32_e32 v14, 0x3f1, v16
	s_wait_alu 0xf1ff
	v_cndmask_b32_e64 v6, v17, v6, s0
	v_add_co_u32 v11, s0, v11, s6
	v_or_b32_e32 v15, 0x1000, v21
	v_med3_i32 v17, v14, 0, 13
	s_wait_alu 0xf1ff
	v_add_co_ci_u32_e64 v12, s0, s7, v12, s0
	v_and_b32_e32 v22, 7, v6
	v_add_co_u32 v13, s0, v11, s6
	v_lshrrev_b32_e32 v24, v17, v15
	s_wait_alu 0xf1ff
	v_add_co_ci_u32_e64 v14, s0, s7, v12, s0
	v_cmp_lt_i32_e64 s0, 5, v22
	v_cmp_eq_u32_e64 s1, 3, v22
	v_lshlrev_b32_e32 v17, v17, v24
	v_lshrrev_b32_e32 v6, 2, v6
	s_wait_dscnt 0x0
	v_lshrrev_b32_e32 v22, 16, v0
	s_or_b32 s0, s1, s0
	v_cmp_ne_u32_e64 s2, v17, v15
	s_wait_alu 0xfffe
	v_add_co_ci_u32_e64 v25, s0, 0, v6, s0
	v_add_nc_u32_e32 v17, 0xfffffc10, v16
	v_mul_f16_e32 v16, v68, v22
	s_wait_alu 0xf1ff
	v_cndmask_b32_e64 v15, 0, 1, s2
	v_cmp_ne_u32_e64 s0, 0, v23
	v_mul_f64_e32 v[5:6], s[10:11], v[4:5]
	v_fmac_f16_e32 v16, v65, v0
	s_delay_alu instid0(VALU_DEP_4)
	v_or_b32_e32 v15, v24, v15
	v_lshl_or_b32 v24, v17, 12, v21
	s_wait_alu 0xf1ff
	v_cndmask_b32_e64 v4, 0, 1, s0
	v_cmp_gt_i32_e64 s0, 1, v17
	v_and_or_b32 v8, 0x1ff, v9, v8
	v_mul_f16_e32 v0, v68, v0
	s_delay_alu instid0(VALU_DEP_4)
	v_lshl_or_b32 v4, v4, 9, 0x7c00
	s_wait_alu 0xf1ff
	v_cndmask_b32_e64 v23, v24, v15, s0
	v_cvt_f32_f16_e32 v15, v16
	v_cmp_gt_i32_e64 s0, 31, v18
	v_cmp_ne_u32_e64 s1, 0, v8
	v_fma_f16 v0, v65, v22, -v0
	s_delay_alu instid0(VALU_DEP_4)
	v_cvt_f64_f32_e32 v[15:16], v15
	s_wait_alu 0xf1ff
	v_cndmask_b32_e64 v24, 0x7c00, v25, s0
	v_cmp_eq_u32_e64 s0, 0x40f, v18
	v_and_b32_e32 v25, 7, v23
	v_cndmask_b32_e64 v8, 0, 1, s1
	v_lshrrev_b32_e32 v18, 8, v9
	v_cvt_f32_f16_e32 v0, v0
	s_wait_alu 0xf1ff
	v_cndmask_b32_e64 v4, v24, v4, s0
	v_cmp_lt_i32_e64 s0, 5, v25
	v_cmp_eq_u32_e64 s1, 3, v25
	v_bfe_u32 v24, v9, 20, 11
	s_delay_alu instid0(VALU_DEP_4) | instskip(SKIP_1) | instid1(VALU_DEP_4)
	v_and_or_b32 v10, 0x8000, v10, v4
	v_lshrrev_b32_e32 v4, 2, v23
	s_or_b32 s0, s1, s0
	v_and_or_b32 v23, 0xffe, v18, v8
	v_sub_nc_u32_e32 v8, 0x3f1, v24
	v_and_b32_e32 v10, 0xffff, v10
	s_wait_alu 0xfffe
	v_add_co_ci_u32_e64 v4, s0, 0, v4, s0
	v_cmp_ne_u32_e64 s0, 0, v21
	v_or_b32_e32 v21, 0x1000, v23
	v_med3_i32 v8, v8, 0, 13
	v_and_or_b32 v5, 0x1ff, v6, v5
	v_lshrrev_b32_e32 v29, 8, v6
	s_wait_alu 0xf1ff
	v_cndmask_b32_e64 v18, 0, 1, s0
	v_cmp_gt_i32_e64 s0, 31, v17
	v_lshrrev_b32_e32 v25, v8, v21
	v_bfe_u32 v30, v6, 20, 11
	v_lshrrev_b32_e32 v6, 16, v6
	v_lshl_or_b32 v18, v18, 9, 0x7c00
	s_wait_alu 0xf1ff
	v_cndmask_b32_e64 v4, 0x7c00, v4, s0
	v_cmp_eq_u32_e64 s0, 0x40f, v17
	v_lshlrev_b32_e32 v8, v8, v25
	s_wait_alu 0xf1ff
	s_delay_alu instid0(VALU_DEP_2)
	v_cndmask_b32_e64 v22, v4, v18, s0
	v_cmp_ne_u32_e64 s0, 0, v5
	v_cvt_f64_f32_e32 v[17:18], v0
	v_mul_f64_e32 v[15:16], s[10:11], v[15:16]
	ds_load_2addr_stride64_b32 v[4:5], v55 offset0:124 offset1:132
	v_and_or_b32 v7, 0x8000, v7, v22
	s_wait_alu 0xf1ff
	v_cndmask_b32_e64 v28, 0, 1, s0
	v_cmp_ne_u32_e64 s0, v8, v21
	v_add_nc_u32_e32 v21, 0xfffffc10, v24
	v_sub_nc_u32_e32 v8, 0x3f1, v30
	global_store_b32 v[11:12], v19, off
	global_store_b32 v[13:14], v20, off
	v_and_or_b32 v24, 0xffe, v29, v28
	s_wait_alu 0xf1ff
	v_cndmask_b32_e64 v0, 0, 1, s0
	v_cmp_gt_i32_e64 s0, 1, v21
	v_med3_i32 v8, v8, 0, 13
	v_lshl_or_b32 v19, v7, 16, v10
	v_or_b32_e32 v28, 0x1000, v24
	v_or_b32_e32 v0, v25, v0
	v_lshl_or_b32 v25, v21, 12, v23
	v_cmp_eq_u32_e64 s2, 0x40f, v21
	s_delay_alu instid0(VALU_DEP_4) | instskip(SKIP_1) | instid1(VALU_DEP_3)
	v_lshrrev_b32_e32 v22, v8, v28
	s_wait_alu 0xf1ff
	v_cndmask_b32_e64 v0, v25, v0, s0
	s_wait_dscnt 0x0
	v_lshrrev_b32_e32 v20, 16, v4
	v_add_co_u32 v7, s0, v13, s4
	v_lshlrev_b32_e32 v11, v8, v22
	v_and_b32_e32 v10, 7, v0
	s_wait_alu 0xf1ff
	v_add_co_ci_u32_e64 v8, s0, s5, v14, s0
	v_mul_f16_e32 v12, v66, v20
	v_cmp_ne_u32_e64 s1, v11, v28
	v_cmp_lt_i32_e64 s0, 5, v10
	v_lshrrev_b32_e32 v0, 2, v0
	v_add_nc_u32_e32 v14, 0xfffffc10, v30
	v_fmac_f16_e32 v12, v64, v4
	s_wait_alu 0xf1ff
	v_cndmask_b32_e64 v11, 0, 1, s1
	v_cmp_eq_u32_e64 s1, 3, v10
	v_mul_f16_e32 v4, v66, v4
	global_store_b32 v[7:8], v19, off
	v_and_or_b32 v15, 0x1ff, v16, v15
	v_or_b32_e32 v13, v22, v11
	v_mul_f64_e32 v[10:11], s[10:11], v[17:18]
	s_or_b32 s0, s1, s0
	v_lshl_or_b32 v22, v14, 12, v24
	s_wait_alu 0xfffe
	v_add_co_ci_u32_e64 v0, s0, 0, v0, s0
	v_cmp_gt_i32_e64 s0, 1, v14
	v_cvt_f32_f16_e32 v12, v12
	v_lshrrev_b32_e32 v18, 8, v16
	v_fma_f16 v4, v64, v20, -v4
	v_lshrrev_b32_e32 v19, 16, v3
	s_wait_alu 0xf1ff
	v_cndmask_b32_e64 v17, v22, v13, s0
	v_cmp_ne_u32_e64 s0, 0, v15
	v_cvt_f64_f32_e32 v[12:13], v12
	v_bfe_u32 v22, v16, 20, 11
	v_cvt_f32_f16_e32 v4, v4
	v_and_b32_e32 v25, 7, v17
	s_wait_alu 0xf1ff
	v_cndmask_b32_e64 v15, 0, 1, s0
	v_cmp_ne_u32_e64 s0, 0, v23
	v_lshrrev_b32_e32 v17, 2, v17
	v_add_nc_u32_e32 v20, 0xfffffc10, v22
	v_cmp_eq_u32_e64 s1, 3, v25
	v_and_or_b32 v15, 0xffe, v18, v15
	v_sub_nc_u32_e32 v18, 0x3f1, v22
	s_wait_alu 0xf1ff
	v_cndmask_b32_e64 v23, 0, 1, s0
	v_cmp_gt_i32_e64 s0, 31, v21
	v_lshrrev_b32_e32 v16, 16, v16
	v_or_b32_e32 v28, 0x1000, v15
	v_med3_i32 v18, v18, 0, 13
	v_lshl_or_b32 v23, v23, 9, 0x7c00
	s_wait_alu 0xf1ff
	v_cndmask_b32_e64 v0, 0x7c00, v0, s0
	v_cmp_lt_i32_e64 s0, 5, v25
	v_lshrrev_b32_e32 v21, v18, v28
	s_delay_alu instid0(VALU_DEP_3) | instskip(NEXT) | instid1(VALU_DEP_3)
	v_cndmask_b32_e64 v0, v0, v23, s2
	s_or_b32 s0, s1, s0
	v_lshrrev_b32_e32 v23, 16, v9
	s_wait_alu 0xfffe
	v_add_co_ci_u32_e64 v17, s0, 0, v17, s0
	v_lshlrev_b32_e32 v9, v18, v21
	v_cmp_gt_i32_e64 s0, 31, v14
	v_and_or_b32 v10, 0x1ff, v11, v10
	v_lshrrev_b32_e32 v25, 8, v11
	v_and_or_b32 v0, 0x8000, v23, v0
	s_wait_alu 0xf1ff
	v_cndmask_b32_e64 v17, 0x7c00, v17, s0
	v_cmp_ne_u32_e64 s0, v9, v28
	v_bfe_u32 v28, v11, 20, 11
	v_and_b32_e32 v0, 0xffff, v0
	s_wait_alu 0xf1ff
	s_delay_alu instid0(VALU_DEP_3) | instskip(SKIP_3) | instid1(VALU_DEP_4)
	v_cndmask_b32_e64 v18, 0, 1, s0
	v_cmp_ne_u32_e64 s0, 0, v10
	v_mul_f64_e32 v[9:10], s[10:11], v[12:13]
	v_cvt_f64_f32_e32 v[12:13], v4
	v_or_b32_e32 v18, v21, v18
	s_wait_alu 0xf1ff
	v_cndmask_b32_e64 v22, 0, 1, s0
	v_cmp_ne_u32_e64 s0, 0, v24
	v_sub_nc_u32_e32 v24, 0x3f1, v28
	v_lshl_or_b32 v21, v20, 12, v15
	s_delay_alu instid0(VALU_DEP_4)
	v_and_or_b32 v22, 0xffe, v25, v22
	s_wait_alu 0xf1ff
	v_cndmask_b32_e64 v4, 0, 1, s0
	v_cmp_gt_i32_e64 s0, 1, v20
	v_med3_i32 v24, v24, 0, 13
	v_or_b32_e32 v25, 0x1000, v22
	s_delay_alu instid0(VALU_DEP_4)
	v_lshl_or_b32 v4, v4, 9, 0x7c00
	s_wait_alu 0xf1ff
	v_cndmask_b32_e64 v18, v21, v18, s0
	v_cmp_eq_u32_e64 s0, 0x40f, v14
	v_lshrrev_b32_e32 v14, v24, v25
	s_wait_alu 0xf1ff
	s_delay_alu instid0(VALU_DEP_2) | instskip(SKIP_1) | instid1(VALU_DEP_2)
	v_cndmask_b32_e64 v4, v17, v4, s0
	v_and_b32_e32 v17, 7, v18
	v_and_or_b32 v6, 0x8000, v6, v4
	v_lshlrev_b32_e32 v4, v24, v14
	s_delay_alu instid0(VALU_DEP_3)
	v_cmp_lt_i32_e64 s0, 5, v17
	v_cmp_eq_u32_e64 s1, 3, v17
	v_lshrrev_b32_e32 v17, 2, v18
	v_add_nc_u32_e32 v18, 0xfffffc10, v28
	v_cmp_ne_u32_e64 s2, v4, v25
	v_lshl_or_b32 v0, v6, 16, v0
	s_or_b32 s0, s1, s0
	s_wait_alu 0xfffe
	v_add_co_ci_u32_e64 v17, s0, 0, v17, s0
	v_cndmask_b32_e64 v4, 0, 1, s2
	v_cmp_ne_u32_e64 s0, 0, v15
	v_mul_f64_e32 v[12:13], s[10:11], v[12:13]
	v_and_or_b32 v9, 0x1ff, v10, v9
	v_lshrrev_b32_e32 v23, 8, v10
	v_or_b32_e32 v4, v14, v4
	v_lshl_or_b32 v14, v18, 12, v22
	s_wait_alu 0xf1ff
	v_cndmask_b32_e64 v15, 0, 1, s0
	v_cmp_gt_i32_e64 s0, 1, v18
	v_bfe_u32 v24, v10, 20, 11
	v_cmp_eq_u32_e64 s2, 0x40f, v20
	v_lshrrev_b32_e32 v10, 16, v10
	v_lshl_or_b32 v21, v15, 9, 0x7c00
	s_wait_alu 0xf1ff
	v_cndmask_b32_e64 v4, v14, v4, s0
	v_mul_f16_e32 v14, v63, v19
	v_cmp_gt_i32_e64 s0, 31, v20
	s_delay_alu instid0(VALU_DEP_3) | instskip(NEXT) | instid1(VALU_DEP_3)
	v_and_b32_e32 v15, 7, v4
	v_fmac_f16_e32 v14, v62, v3
	s_wait_alu 0xf1ff
	s_delay_alu instid0(VALU_DEP_3)
	v_cndmask_b32_e64 v17, 0x7c00, v17, s0
	v_cmp_ne_u32_e64 s0, 0, v9
	v_lshrrev_b32_e32 v4, 2, v4
	v_cmp_eq_u32_e64 s1, 3, v15
	v_cvt_f32_f16_e32 v14, v14
	v_cndmask_b32_e64 v17, v17, v21, s2
	s_wait_alu 0xf1ff
	v_cndmask_b32_e64 v9, 0, 1, s0
	v_cmp_lt_i32_e64 s0, 5, v15
	v_mul_f16_e32 v3, v63, v3
	v_cvt_f64_f32_e32 v[14:15], v14
	v_and_or_b32 v16, 0x8000, v16, v17
	v_and_or_b32 v9, 0xffe, v23, v9
	v_sub_nc_u32_e32 v23, 0x3f1, v24
	s_or_b32 s0, s1, s0
	v_fma_f16 v3, v62, v19, -v3
	s_wait_alu 0xfffe
	v_add_co_ci_u32_e64 v4, s0, 0, v4, s0
	v_or_b32_e32 v20, 0x1000, v9
	v_med3_i32 v21, v23, 0, 13
	v_cmp_ne_u32_e64 s0, 0, v22
	v_cvt_f32_f16_e32 v3, v3
	v_and_b32_e32 v16, 0xffff, v16
	s_delay_alu instid0(VALU_DEP_4) | instskip(SKIP_3) | instid1(VALU_DEP_3)
	v_lshrrev_b32_e32 v23, v21, v20
	s_wait_alu 0xf1ff
	v_cndmask_b32_e64 v22, 0, 1, s0
	v_cmp_gt_i32_e64 s0, 31, v18
	v_lshlrev_b32_e32 v17, v21, v23
	s_delay_alu instid0(VALU_DEP_3) | instskip(SKIP_1) | instid1(VALU_DEP_3)
	v_lshl_or_b32 v22, v22, 9, 0x7c00
	s_wait_alu 0xf1ff
	v_cndmask_b32_e64 v4, 0x7c00, v4, s0
	v_cmp_eq_u32_e64 s0, 0x40f, v18
	v_bfe_u32 v21, v13, 20, 11
	s_wait_alu 0xf1ff
	s_delay_alu instid0(VALU_DEP_2)
	v_cndmask_b32_e64 v18, v4, v22, s0
	v_and_or_b32 v4, 0x1ff, v13, v12
	v_cmp_ne_u32_e64 s0, v17, v20
	v_add_nc_u32_e32 v17, 0xfffffc10, v24
	v_lshrrev_b32_e32 v20, 8, v13
	v_lshrrev_b32_e32 v13, 16, v13
	s_wait_alu 0xf1ff
	v_cndmask_b32_e64 v12, 0, 1, s0
	v_cmp_ne_u32_e64 s0, 0, v4
	v_cvt_f64_f32_e32 v[3:4], v3
	v_lshl_or_b32 v22, v17, 12, v9
	s_delay_alu instid0(VALU_DEP_4) | instskip(SKIP_4) | instid1(VALU_DEP_3)
	v_or_b32_e32 v12, v23, v12
	s_wait_alu 0xf1ff
	v_cndmask_b32_e64 v19, 0, 1, s0
	v_cmp_gt_i32_e64 s0, 1, v17
	v_lshrrev_b32_e32 v23, 16, v11
	v_and_or_b32 v19, 0xffe, v20, v19
	v_sub_nc_u32_e32 v20, 0x3f1, v21
	s_wait_alu 0xf1ff
	v_cndmask_b32_e64 v22, v22, v12, s0
	v_mul_f64_e32 v[11:12], s[10:11], v[14:15]
	v_and_or_b32 v18, 0x8000, v23, v18
	v_or_b32_e32 v14, 0x1000, v19
	v_med3_i32 v15, v20, 0, 13
	v_and_b32_e32 v20, 7, v22
	v_add_co_u32 v6, s0, v7, s6
	s_wait_alu 0xf1ff
	v_add_co_ci_u32_e64 v7, s0, s7, v8, s0
	v_lshrrev_b32_e32 v23, v15, v14
	v_cmp_lt_i32_e64 s0, 5, v20
	v_cmp_eq_u32_e64 s1, 3, v20
	v_lshl_or_b32 v16, v18, 16, v16
	v_lshrrev_b32_e32 v18, 16, v2
	v_lshlrev_b32_e32 v8, v15, v23
	v_lshrrev_b32_e32 v15, 2, v22
	s_or_b32 s0, s1, s0
	v_add_nc_u32_e32 v20, 0xfffffc10, v21
	s_delay_alu instid0(VALU_DEP_3)
	v_cmp_ne_u32_e64 s2, v8, v14
	s_wait_alu 0xfffe
	v_add_co_ci_u32_e64 v15, s0, 0, v15, s0
	v_mul_f16_e32 v14, v61, v18
	v_cmp_ne_u32_e64 s0, 0, v9
	s_wait_alu 0xf1ff
	v_cndmask_b32_e64 v8, 0, 1, s2
	v_lshl_or_b32 v21, v20, 12, v19
	v_mul_f64_e32 v[3:4], s[10:11], v[3:4]
	v_fmac_f16_e32 v14, v60, v2
	v_cndmask_b32_e64 v9, 0, 1, s0
	v_or_b32_e32 v8, v23, v8
	v_cmp_gt_i32_e64 s0, 1, v20
	s_delay_alu instid0(VALU_DEP_3) | instskip(SKIP_1) | instid1(VALU_DEP_2)
	v_lshl_or_b32 v23, v9, 9, 0x7c00
	s_wait_alu 0xf1ff
	v_cndmask_b32_e64 v21, v21, v8, s0
	v_cvt_f32_f16_e32 v8, v14
	v_cmp_gt_i32_e64 s0, 31, v17
	v_and_or_b32 v11, 0x1ff, v12, v11
	s_delay_alu instid0(VALU_DEP_4) | instskip(NEXT) | instid1(VALU_DEP_4)
	v_and_b32_e32 v24, 7, v21
	v_cvt_f64_f32_e32 v[8:9], v8
	s_wait_alu 0xf1ff
	v_cndmask_b32_e64 v22, 0x7c00, v15, s0
	v_add_co_u32 v14, s0, v6, s6
	s_wait_alu 0xf1ff
	v_add_co_ci_u32_e64 v15, s0, s7, v7, s0
	v_cmp_eq_u32_e64 s0, 0x40f, v17
	v_cmp_ne_u32_e64 s1, 0, v11
	v_lshrrev_b32_e32 v21, 2, v21
	global_store_b32 v[6:7], v0, off
	global_store_b32 v[14:15], v16, off
	s_wait_alu 0xf1ff
	v_cndmask_b32_e64 v17, v22, v23, s0
	v_cmp_lt_i32_e64 s0, 5, v24
	v_cndmask_b32_e64 v11, 0, 1, s1
	v_cmp_eq_u32_e64 s1, 3, v24
	v_lshrrev_b32_e32 v22, 8, v12
	v_bfe_u32 v23, v12, 20, 11
	v_and_or_b32 v10, 0x8000, v10, v17
	v_lshrrev_b32_e32 v12, 16, v12
	s_or_b32 s0, s1, s0
	v_and_or_b32 v22, 0xffe, v22, v11
	s_wait_alu 0xfffe
	v_add_co_ci_u32_e64 v21, s0, 0, v21, s0
	v_cmp_ne_u32_e64 s0, 0, v19
	v_sub_nc_u32_e32 v11, 0x3f1, v23
	v_or_b32_e32 v24, 0x1000, v22
	v_and_or_b32 v3, 0x1ff, v4, v3
	v_lshrrev_b32_e32 v25, 8, v4
	s_wait_alu 0xf1ff
	v_cndmask_b32_e64 v19, 0, 1, s0
	v_cmp_gt_i32_e64 s0, 31, v20
	v_med3_i32 v11, v11, 0, 13
	v_bfe_u32 v28, v4, 20, 11
	v_and_b32_e32 v10, 0xffff, v10
	v_lshl_or_b32 v19, v19, 9, 0x7c00
	s_wait_alu 0xf1ff
	v_cndmask_b32_e64 v21, 0x7c00, v21, s0
	v_cmp_eq_u32_e64 s0, 0x40f, v20
	v_lshrrev_b32_e32 v17, v11, v24
	v_mul_f16_e32 v20, v61, v2
	v_lshrrev_b32_e32 v4, 16, v4
	s_wait_alu 0xf1ff
	v_cndmask_b32_e64 v19, v21, v19, s0
	v_cmp_ne_u32_e64 s0, 0, v3
	v_lshlrev_b32_e32 v11, v11, v17
	v_mul_f64_e32 v[2:3], s[10:11], v[8:9]
	v_fma_f16 v8, v60, v18, -v20
	v_add_nc_u32_e32 v18, 0xfffffc10, v23
	s_wait_alu 0xf1ff
	v_cndmask_b32_e64 v21, 0, 1, s0
	v_cmp_ne_u32_e64 s0, v11, v24
	v_sub_nc_u32_e32 v11, 0x3f1, v28
	v_cvt_f32_f16_e32 v8, v8
	v_and_or_b32 v13, 0x8000, v13, v19
	v_and_or_b32 v20, 0xffe, v25, v21
	s_wait_alu 0xf1ff
	v_cndmask_b32_e64 v9, 0, 1, s0
	v_med3_i32 v11, v11, 0, 13
	v_lshl_or_b32 v21, v18, 12, v22
	v_cmp_gt_i32_e64 s0, 1, v18
	v_or_b32_e32 v23, 0x1000, v20
	v_or_b32_e32 v17, v17, v9
	v_cvt_f64_f32_e32 v[8:9], v8
	v_lshl_or_b32 v16, v13, 16, v10
	v_lshrrev_b32_e32 v13, 16, v1
	v_lshrrev_b32_e32 v19, v11, v23
	s_wait_alu 0xf1ff
	v_cndmask_b32_e64 v17, v21, v17, s0
	v_add_co_u32 v6, s0, v14, s6
	s_wait_alu 0xf1ff
	v_add_co_ci_u32_e64 v7, s0, s7, v15, s0
	v_lshlrev_b32_e32 v10, v11, v19
	v_and_b32_e32 v0, 7, v17
	v_add_nc_u32_e32 v14, 0xfffffc10, v28
	v_mul_f16_e32 v11, v59, v13
	v_cmp_eq_u32_e64 s2, 0x40f, v18
	v_cmp_ne_u32_e64 s1, v10, v23
	v_cmp_lt_i32_e64 s0, 5, v0
	v_lshl_or_b32 v15, v14, 12, v20
	v_fmac_f16_e32 v11, v58, v1
	s_wait_alu 0xf1ff
	v_cndmask_b32_e64 v10, 0, 1, s1
	v_cmp_eq_u32_e64 s1, 3, v0
	v_lshrrev_b32_e32 v0, 2, v17
	v_cvt_f32_f16_e32 v11, v11
	v_and_or_b32 v2, 0x1ff, v3, v2
	v_or_b32_e32 v10, v19, v10
	s_or_b32 s0, s1, s0
	v_lshrrev_b32_e32 v17, 8, v3
	s_wait_alu 0xfffe
	v_add_co_ci_u32_e64 v0, s0, 0, v0, s0
	v_cmp_gt_i32_e64 s0, 1, v14
	v_bfe_u32 v19, v3, 20, 11
	s_wait_alu 0xf1ff
	s_delay_alu instid0(VALU_DEP_2) | instskip(SKIP_4) | instid1(VALU_DEP_3)
	v_cndmask_b32_e64 v15, v15, v10, s0
	v_cmp_ne_u32_e64 s0, 0, v2
	v_cvt_f64_f32_e32 v[10:11], v11
	v_mul_f64_e32 v[8:9], s[10:11], v[8:9]
	s_wait_alu 0xf1ff
	v_cndmask_b32_e64 v2, 0, 1, s0
	v_cmp_ne_u32_e64 s0, 0, v22
	v_and_b32_e32 v22, 7, v15
	v_lshrrev_b32_e32 v15, 2, v15
	s_delay_alu instid0(VALU_DEP_4)
	v_and_or_b32 v2, 0xffe, v17, v2
	s_wait_alu 0xf1ff
	v_cndmask_b32_e64 v21, 0, 1, s0
	v_cmp_gt_i32_e64 s0, 31, v18
	v_sub_nc_u32_e32 v17, 0x3f1, v19
	v_cmp_eq_u32_e64 s1, 3, v22
	v_or_b32_e32 v23, 0x1000, v2
	v_lshl_or_b32 v21, v21, 9, 0x7c00
	s_wait_alu 0xf1ff
	v_cndmask_b32_e64 v0, 0x7c00, v0, s0
	v_cmp_lt_i32_e64 s0, 5, v22
	v_med3_i32 v17, v17, 0, 13
	v_add_nc_u32_e32 v19, 0xfffffc10, v19
	s_delay_alu instid0(VALU_DEP_4) | instskip(NEXT) | instid1(VALU_DEP_4)
	v_cndmask_b32_e64 v0, v0, v21, s2
	s_or_b32 s0, s1, s0
	s_delay_alu instid0(VALU_DEP_3)
	v_lshrrev_b32_e32 v18, v17, v23
	s_wait_alu 0xfffe
	v_add_co_ci_u32_e64 v15, s0, 0, v15, s0
	v_cmp_ne_u32_e64 s0, 0, v20
	v_and_or_b32 v12, 0x8000, v12, v0
	v_lshlrev_b32_e32 v17, v17, v18
	s_wait_alu 0xf1ff
	s_delay_alu instid0(VALU_DEP_3) | instskip(SKIP_2) | instid1(VALU_DEP_3)
	v_cndmask_b32_e64 v20, 0, 1, s0
	v_cmp_gt_i32_e64 s0, 31, v14
	v_and_b32_e32 v12, 0xffff, v12
	v_lshl_or_b32 v20, v20, 9, 0x7c00
	s_wait_alu 0xf1ff
	s_delay_alu instid0(VALU_DEP_3) | instskip(SKIP_3) | instid1(VALU_DEP_2)
	v_cndmask_b32_e64 v15, 0x7c00, v15, s0
	v_cmp_ne_u32_e64 s0, v17, v23
	v_and_or_b32 v8, 0x1ff, v9, v8
	s_wait_alu 0xf1ff
	v_cndmask_b32_e64 v17, 0, 1, s0
	v_cmp_eq_u32_e64 s0, 0x40f, v14
	s_wait_alu 0xf1ff
	s_delay_alu instid0(VALU_DEP_1) | instskip(NEXT) | instid1(VALU_DEP_3)
	v_cndmask_b32_e64 v14, v15, v20, s0
	v_or_b32_e32 v15, v18, v17
	v_mul_f16_e32 v17, v59, v1
	v_mul_f64_e32 v[0:1], s[10:11], v[10:11]
	v_lshl_or_b32 v10, v19, 12, v2
	v_cmp_gt_i32_e64 s0, 1, v19
	v_and_or_b32 v4, 0x8000, v4, v14
	v_fma_f16 v11, v58, v13, -v17
	v_bfe_u32 v17, v9, 20, 11
	v_lshrrev_b32_e32 v18, 16, v5
	s_wait_alu 0xf1ff
	v_cndmask_b32_e64 v13, v10, v15, s0
	v_cmp_ne_u32_e64 s0, 0, v8
	v_cvt_f32_f16_e32 v10, v11
	v_lshrrev_b32_e32 v15, 8, v9
	v_mul_f16_e32 v21, v57, v18
	v_and_b32_e32 v14, 7, v13
	s_wait_alu 0xf1ff
	v_cndmask_b32_e64 v8, 0, 1, s0
	v_cvt_f64_f32_e32 v[10:11], v10
	v_fmac_f16_e32 v21, v56, v5
	v_cmp_lt_i32_e64 s0, 5, v14
	s_delay_alu instid0(VALU_DEP_4)
	v_and_or_b32 v8, 0xffe, v15, v8
	v_sub_nc_u32_e32 v15, 0x3f1, v17
	v_cmp_eq_u32_e64 s1, 3, v14
	v_lshl_or_b32 v14, v4, 16, v12
	v_lshrrev_b32_e32 v4, 2, v13
	v_or_b32_e32 v20, 0x1000, v8
	v_med3_i32 v15, v15, 0, 13
	s_or_b32 s0, s1, s0
	v_cvt_f32_f16_e32 v12, v21
	s_wait_alu 0xfffe
	v_add_co_ci_u32_e64 v4, s0, 0, v4, s0
	v_lshrrev_b32_e32 v22, v15, v20
	v_cmp_ne_u32_e64 s0, 0, v2
	v_cvt_f64_f32_e32 v[12:13], v12
	v_mul_f16_e32 v5, v57, v5
	s_delay_alu instid0(VALU_DEP_4)
	v_lshlrev_b32_e32 v15, v15, v22
	s_wait_alu 0xf1ff
	v_cndmask_b32_e64 v2, 0, 1, s0
	v_cmp_gt_i32_e64 s0, 31, v19
	v_fma_f16 v18, v56, v18, -v5
	v_and_or_b32 v0, 0x1ff, v1, v0
	s_delay_alu instid0(VALU_DEP_4)
	v_lshl_or_b32 v2, v2, 9, 0x7c00
	s_wait_alu 0xf1ff
	v_cndmask_b32_e64 v21, 0x7c00, v4, s0
	v_cmp_ne_u32_e64 s0, v15, v20
	v_add_nc_u32_e32 v15, 0xfffffc10, v17
	v_lshrrev_b32_e32 v17, 8, v1
	s_wait_alu 0xf1ff
	s_delay_alu instid0(VALU_DEP_3) | instskip(SKIP_2) | instid1(VALU_DEP_3)
	v_cndmask_b32_e64 v4, 0, 1, s0
	v_cmp_ne_u32_e64 s0, 0, v0
	v_lshl_or_b32 v23, v15, 12, v8
	v_or_b32_e32 v20, v22, v4
	s_wait_alu 0xf1ff
	s_delay_alu instid0(VALU_DEP_3)
	v_cndmask_b32_e64 v0, 0, 1, s0
	v_bfe_u32 v22, v1, 20, 11
	v_cmp_gt_i32_e64 s0, 1, v15
	v_mul_f64_e32 v[4:5], s[10:11], v[10:11]
	v_cvt_f32_f16_e32 v11, v18
	v_and_or_b32 v0, 0xffe, v17, v0
	v_sub_nc_u32_e32 v10, 0x3f1, v22
	s_wait_alu 0xf1ff
	v_cndmask_b32_e64 v17, v23, v20, s0
	v_cmp_eq_u32_e64 s0, 0x40f, v19
	v_lshrrev_b32_e32 v1, 16, v1
	v_or_b32_e32 v18, 0x1000, v0
	v_med3_i32 v20, v10, 0, 13
	v_cvt_f64_f32_e32 v[10:11], v11
	v_and_b32_e32 v23, 7, v17
	s_wait_alu 0xf1ff
	v_cndmask_b32_e64 v19, v21, v2, s0
	v_add_co_u32 v2, s0, v6, s4
	v_lshrrev_b32_e32 v24, v20, v18
	v_lshrrev_b32_e32 v21, 16, v3
	s_wait_alu 0xf1ff
	v_add_co_ci_u32_e64 v3, s0, s5, v7, s0
	v_cmp_lt_i32_e64 s0, 5, v23
	v_cmp_eq_u32_e64 s1, 3, v23
	v_lshrrev_b32_e32 v17, 2, v17
	v_lshlrev_b32_e32 v20, v20, v24
	v_mul_f64_e32 v[12:13], s[10:11], v[12:13]
	v_and_or_b32 v19, 0x8000, v21, v19
	s_or_b32 s0, s1, s0
	s_wait_alu 0xfffe
	v_add_co_ci_u32_e64 v17, s0, 0, v17, s0
	v_cmp_ne_u32_e64 s2, v20, v18
	v_cmp_ne_u32_e64 s0, 0, v8
	v_add_nc_u32_e32 v20, 0xfffffc10, v22
	s_wait_alu 0xf1ff
	s_delay_alu instid0(VALU_DEP_3) | instskip(NEXT) | instid1(VALU_DEP_3)
	v_cndmask_b32_e64 v18, 0, 1, s2
	v_cndmask_b32_e64 v8, 0, 1, s0
	v_cmp_gt_i32_e64 s0, 31, v15
	v_lshl_or_b32 v21, v20, 12, v0
	s_delay_alu instid0(VALU_DEP_4) | instskip(NEXT) | instid1(VALU_DEP_4)
	v_or_b32_e32 v18, v24, v18
	v_lshl_or_b32 v8, v8, 9, 0x7c00
	s_wait_alu 0xf1ff
	v_cndmask_b32_e64 v17, 0x7c00, v17, s0
	v_cmp_gt_i32_e64 s0, 1, v20
	v_and_or_b32 v4, 0x1ff, v5, v4
	v_lshrrev_b32_e32 v22, 8, v5
	s_wait_alu 0xf1ff
	s_delay_alu instid0(VALU_DEP_3) | instskip(SKIP_1) | instid1(VALU_DEP_2)
	v_cndmask_b32_e64 v18, v21, v18, s0
	v_cmp_eq_u32_e64 s0, 0x40f, v15
	v_and_b32_e32 v21, 7, v18
	s_wait_alu 0xf1ff
	s_delay_alu instid0(VALU_DEP_2)
	v_cndmask_b32_e64 v15, v17, v8, s0
	v_lshrrev_b32_e32 v17, 16, v9
	v_cmp_ne_u32_e64 s0, 0, v4
	v_mul_f64_e32 v[8:9], s[10:11], v[10:11]
	v_bfe_u32 v10, v5, 20, 11
	v_cmp_eq_u32_e64 s1, 3, v21
	v_and_or_b32 v11, 0x8000, v17, v15
	v_and_b32_e32 v15, 0xffff, v19
	s_wait_alu 0xf1ff
	v_cndmask_b32_e64 v4, 0, 1, s0
	v_cmp_lt_i32_e64 s0, 5, v21
	v_sub_nc_u32_e32 v17, 0x3f1, v10
	v_and_or_b32 v12, 0x1ff, v13, v12
	v_lshl_or_b32 v11, v11, 16, v15
	v_lshrrev_b32_e32 v15, 2, v18
	v_and_or_b32 v4, 0xffe, v22, v4
	s_or_b32 s0, s1, s0
	v_med3_i32 v17, v17, 0, 13
	v_lshrrev_b32_e32 v21, 8, v13
	s_wait_alu 0xfffe
	v_add_co_ci_u32_e64 v15, s0, 0, v15, s0
	v_or_b32_e32 v18, 0x1000, v4
	v_cmp_ne_u32_e64 s0, 0, v0
	v_bfe_u32 v22, v13, 20, 11
	v_add_nc_u32_e32 v10, 0xfffffc10, v10
	v_lshrrev_b32_e32 v5, 16, v5
	v_lshrrev_b32_e32 v19, v17, v18
	s_wait_alu 0xf1ff
	v_cndmask_b32_e64 v0, 0, 1, s0
	v_cmp_gt_i32_e64 s0, 31, v20
	s_delay_alu instid0(VALU_DEP_3) | instskip(NEXT) | instid1(VALU_DEP_3)
	v_lshlrev_b32_e32 v17, v17, v19
	v_lshl_or_b32 v0, v0, 9, 0x7c00
	s_wait_alu 0xf1ff
	s_delay_alu instid0(VALU_DEP_3) | instskip(SKIP_2) | instid1(VALU_DEP_1)
	v_cndmask_b32_e64 v15, 0x7c00, v15, s0
	v_cmp_ne_u32_e64 s0, 0, v12
	s_wait_alu 0xf1ff
	v_cndmask_b32_e64 v12, 0, 1, s0
	v_cmp_ne_u32_e64 s0, v17, v18
	v_sub_nc_u32_e32 v18, 0x3f1, v22
	v_and_or_b32 v8, 0x1ff, v9, v8
	s_delay_alu instid0(VALU_DEP_4)
	v_and_or_b32 v12, 0xffe, v21, v12
	s_wait_alu 0xf1ff
	v_cndmask_b32_e64 v17, 0, 1, s0
	v_cmp_eq_u32_e64 s0, 0x40f, v20
	v_med3_i32 v18, v18, 0, 13
	v_lshrrev_b32_e32 v20, 8, v9
	v_bfe_u32 v21, v9, 20, 11
	s_wait_alu 0xf1ff
	v_cndmask_b32_e64 v0, v15, v0, s0
	v_or_b32_e32 v15, v19, v17
	v_lshl_or_b32 v17, v10, 12, v4
	v_or_b32_e32 v19, 0x1000, v12
	v_cmp_gt_i32_e64 s0, 1, v10
	v_and_or_b32 v0, 0x8000, v1, v0
	s_wait_alu 0xf1ff
	s_delay_alu instid0(VALU_DEP_2) | instskip(SKIP_3) | instid1(VALU_DEP_4)
	v_cndmask_b32_e64 v15, v17, v15, s0
	v_lshrrev_b32_e32 v17, v18, v19
	v_cmp_ne_u32_e64 s0, 0, v8
	v_and_b32_e32 v0, 0xffff, v0
	v_and_b32_e32 v23, 7, v15
	s_delay_alu instid0(VALU_DEP_4)
	v_lshlrev_b32_e32 v18, v18, v17
	s_wait_alu 0xf1ff
	v_cndmask_b32_e64 v8, 0, 1, s0
	v_lshrrev_b32_e32 v15, 2, v15
	v_cmp_lt_i32_e64 s0, 5, v23
	v_cmp_ne_u32_e64 s1, v18, v19
	s_delay_alu instid0(VALU_DEP_4)
	v_and_or_b32 v1, 0xffe, v20, v8
	v_sub_nc_u32_e32 v8, 0x3f1, v21
	v_add_nc_u32_e32 v20, 0xfffffc10, v22
	s_wait_alu 0xf1ff
	v_cndmask_b32_e64 v18, 0, 1, s1
	v_cmp_eq_u32_e64 s1, 3, v23
	v_or_b32_e32 v19, 0x1000, v1
	v_med3_i32 v8, v8, 0, 13
	v_lshl_or_b32 v22, v20, 12, v12
	v_or_b32_e32 v17, v17, v18
	s_or_b32 s0, s1, s0
	s_wait_alu 0xfffe
	v_add_co_ci_u32_e64 v15, s0, 0, v15, s0
	v_lshrrev_b32_e32 v18, v8, v19
	v_cmp_gt_i32_e64 s0, 1, v20
	s_delay_alu instid0(VALU_DEP_2) | instskip(SKIP_1) | instid1(VALU_DEP_2)
	v_lshlrev_b32_e32 v8, v8, v18
	s_wait_alu 0xf1ff
	v_cndmask_b32_e64 v17, v22, v17, s0
	v_cmp_ne_u32_e64 s0, 0, v4
	s_wait_alu 0xf1ff
	s_delay_alu instid0(VALU_DEP_1) | instskip(SKIP_3) | instid1(VALU_DEP_4)
	v_cndmask_b32_e64 v4, 0, 1, s0
	v_cmp_ne_u32_e64 s0, v8, v19
	v_add_nc_u32_e32 v19, 0xfffffc10, v21
	v_and_b32_e32 v21, 7, v17
	v_lshl_or_b32 v4, v4, 9, 0x7c00
	s_wait_alu 0xf1ff
	v_cndmask_b32_e64 v8, 0, 1, s0
	v_cmp_gt_i32_e64 s0, 31, v10
	v_cmp_gt_i32_e64 s2, 1, v19
	v_cmp_eq_u32_e64 s1, 3, v21
	s_delay_alu instid0(VALU_DEP_4) | instskip(SKIP_4) | instid1(VALU_DEP_3)
	v_or_b32_e32 v8, v18, v8
	v_lshl_or_b32 v18, v19, 12, v1
	s_wait_alu 0xf1ff
	v_cndmask_b32_e64 v15, 0x7c00, v15, s0
	v_cmp_lt_i32_e64 s0, 5, v21
	v_cndmask_b32_e64 v8, v18, v8, s2
	v_cmp_eq_u32_e64 s2, 0x40f, v10
	v_lshrrev_b32_e32 v10, 2, v17
	s_delay_alu instid0(VALU_DEP_4) | instskip(NEXT) | instid1(VALU_DEP_2)
	s_or_b32 s0, s1, s0
	v_cndmask_b32_e64 v4, v15, v4, s2
	s_wait_alu 0xfffe
	s_delay_alu instid0(VALU_DEP_2) | instskip(SKIP_4) | instid1(VALU_DEP_4)
	v_add_co_ci_u32_e64 v10, s0, 0, v10, s0
	v_and_b32_e32 v15, 7, v8
	v_cmp_ne_u32_e64 s0, 0, v12
	v_lshrrev_b32_e32 v8, 2, v8
	v_cmp_gt_i32_e64 s2, 31, v20
	v_cmp_eq_u32_e64 s1, 3, v15
	s_wait_alu 0xf1ff
	v_cndmask_b32_e64 v12, 0, 1, s0
	v_cmp_lt_i32_e64 s0, 5, v15
	v_cndmask_b32_e64 v10, 0x7c00, v10, s2
	s_delay_alu instid0(VALU_DEP_3) | instskip(NEXT) | instid1(VALU_DEP_3)
	v_lshl_or_b32 v12, v12, 9, 0x7c00
	s_or_b32 s0, s1, s0
	s_wait_alu 0xfffe
	v_add_co_ci_u32_e64 v8, s0, 0, v8, s0
	v_cmp_ne_u32_e64 s0, 0, v1
	s_wait_alu 0xf1ff
	s_delay_alu instid0(VALU_DEP_1) | instskip(SKIP_1) | instid1(VALU_DEP_2)
	v_cndmask_b32_e64 v1, 0, 1, s0
	v_cmp_eq_u32_e64 s0, 0x40f, v20
	v_lshl_or_b32 v1, v1, 9, 0x7c00
	s_wait_alu 0xf1ff
	s_delay_alu instid0(VALU_DEP_2) | instskip(SKIP_4) | instid1(VALU_DEP_3)
	v_cndmask_b32_e64 v10, v10, v12, s0
	v_cmp_gt_i32_e64 s0, 31, v19
	v_lshrrev_b32_e32 v12, 16, v13
	v_and_or_b32 v13, 0x8000, v5, v4
	s_wait_alu 0xf1ff
	v_cndmask_b32_e64 v8, 0x7c00, v8, s0
	v_cmp_eq_u32_e64 s0, 0x40f, v19
	v_and_or_b32 v10, 0x8000, v12, v10
	v_lshl_or_b32 v12, v13, 16, v0
	s_wait_alu 0xf1ff
	s_delay_alu instid0(VALU_DEP_3) | instskip(SKIP_4) | instid1(VALU_DEP_3)
	v_cndmask_b32_e64 v1, v8, v1, s0
	v_lshrrev_b32_e32 v8, 16, v9
	v_add_co_u32 v4, s0, v2, s6
	s_wait_alu 0xf1ff
	v_add_co_ci_u32_e64 v5, s0, s7, v3, s0
	v_and_or_b32 v0, 0x8000, v8, v1
	v_and_b32_e32 v1, 0xffff, v10
	v_add_co_u32 v8, s0, v4, s6
	s_wait_alu 0xf1ff
	v_add_co_ci_u32_e64 v9, s0, s7, v5, s0
	s_delay_alu instid0(VALU_DEP_3) | instskip(NEXT) | instid1(VALU_DEP_3)
	v_lshl_or_b32 v10, v0, 16, v1
	v_add_co_u32 v0, s0, v8, s6
	s_wait_alu 0xf1ff
	s_delay_alu instid0(VALU_DEP_3)
	v_add_co_ci_u32_e64 v1, s0, s7, v9, s0
	global_store_b32 v[6:7], v16, off
	global_store_b32 v[2:3], v14, off
	;; [unrolled: 1-line block ×5, first 2 shown]
	s_and_b32 exec_lo, exec_lo, vcc_lo
	s_cbranch_execz .LBB0_39
; %bb.38:
	global_load_b32 v4, v[26:27], off offset:8192
	ds_load_2addr_stride64_b32 v[2:3], v55 offset0:32 offset1:68
	s_wait_dscnt 0x0
	v_lshrrev_b32_e32 v5, 16, v2
	s_wait_loadcnt 0x0
	v_lshrrev_b32_e32 v6, 16, v4
	s_delay_alu instid0(VALU_DEP_1) | instskip(SKIP_1) | instid1(VALU_DEP_2)
	v_mul_f16_e32 v7, v5, v6
	v_mul_f16_e32 v6, v2, v6
	v_fmac_f16_e32 v7, v2, v4
	s_delay_alu instid0(VALU_DEP_2) | instskip(NEXT) | instid1(VALU_DEP_2)
	v_fma_f16 v2, v4, v5, -v6
	v_cvt_f32_f16_e32 v4, v7
	s_delay_alu instid0(VALU_DEP_2) | instskip(NEXT) | instid1(VALU_DEP_2)
	v_cvt_f32_f16_e32 v2, v2
	v_cvt_f64_f32_e32 v[4:5], v4
	s_delay_alu instid0(VALU_DEP_2) | instskip(NEXT) | instid1(VALU_DEP_2)
	v_cvt_f64_f32_e32 v[6:7], v2
	v_mul_f64_e32 v[4:5], s[10:11], v[4:5]
	s_delay_alu instid0(VALU_DEP_2) | instskip(NEXT) | instid1(VALU_DEP_2)
	v_mul_f64_e32 v[6:7], s[10:11], v[6:7]
	v_and_or_b32 v2, 0x1ff, v5, v4
	s_delay_alu instid0(VALU_DEP_2)
	v_and_or_b32 v6, 0x1ff, v7, v6
	v_lshrrev_b32_e32 v4, 8, v5
	v_bfe_u32 v8, v5, 20, 11
	v_lshrrev_b32_e32 v9, 8, v7
	v_cmp_ne_u32_e32 vcc_lo, 0, v2
	v_bfe_u32 v10, v7, 20, 11
	v_lshrrev_b32_e32 v5, 16, v5
	v_sub_nc_u32_e32 v11, 0x3f1, v8
	v_add_nc_u32_e32 v8, 0xfffffc10, v8
	s_wait_alu 0xfffd
	v_cndmask_b32_e64 v2, 0, 1, vcc_lo
	v_cmp_ne_u32_e32 vcc_lo, 0, v6
	v_lshrrev_b32_e32 v7, 16, v7
	s_delay_alu instid0(VALU_DEP_3) | instskip(SKIP_4) | instid1(VALU_DEP_3)
	v_and_or_b32 v2, 0xffe, v4, v2
	s_wait_alu 0xfffd
	v_cndmask_b32_e64 v6, 0, 1, vcc_lo
	v_sub_nc_u32_e32 v4, 0x3f1, v10
	v_add_nc_u32_e32 v10, 0xfffffc10, v10
	v_and_or_b32 v6, 0xffe, v9, v6
	v_med3_i32 v9, v11, 0, 13
	v_or_b32_e32 v11, 0x1000, v2
	v_med3_i32 v4, v4, 0, 13
	s_delay_alu instid0(VALU_DEP_4) | instskip(NEXT) | instid1(VALU_DEP_3)
	v_or_b32_e32 v12, 0x1000, v6
	v_lshrrev_b32_e32 v13, v9, v11
	s_delay_alu instid0(VALU_DEP_2) | instskip(NEXT) | instid1(VALU_DEP_2)
	v_lshrrev_b32_e32 v14, v4, v12
	v_lshlrev_b32_e32 v9, v9, v13
	s_delay_alu instid0(VALU_DEP_1) | instskip(SKIP_3) | instid1(VALU_DEP_1)
	v_cmp_ne_u32_e32 vcc_lo, v9, v11
	v_lshl_or_b32 v11, v8, 12, v2
	s_wait_alu 0xfffd
	v_cndmask_b32_e64 v9, 0, 1, vcc_lo
	v_or_b32_e32 v9, v13, v9
	v_lshlrev_b32_e32 v4, v4, v14
	s_delay_alu instid0(VALU_DEP_1) | instskip(SKIP_4) | instid1(VALU_DEP_2)
	v_cmp_ne_u32_e32 vcc_lo, v4, v12
	v_lshl_or_b32 v12, v10, 12, v6
	s_wait_alu 0xfffd
	v_cndmask_b32_e64 v4, 0, 1, vcc_lo
	v_cmp_gt_i32_e32 vcc_lo, 1, v8
	v_or_b32_e32 v4, v14, v4
	s_wait_alu 0xfffd
	v_cndmask_b32_e32 v9, v11, v9, vcc_lo
	v_cmp_gt_i32_e32 vcc_lo, 1, v10
	s_wait_alu 0xfffd
	s_delay_alu instid0(VALU_DEP_2) | instskip(SKIP_2) | instid1(VALU_DEP_3)
	v_dual_cndmask_b32 v4, v12, v4 :: v_dual_and_b32 v11, 7, v9
	v_cmp_ne_u32_e32 vcc_lo, 0, v2
	v_lshrrev_b32_e32 v9, 2, v9
	v_cmp_eq_u32_e64 s0, 3, v11
	s_wait_alu 0xfffd
	v_cndmask_b32_e64 v2, 0, 1, vcc_lo
	v_cmp_ne_u32_e32 vcc_lo, 0, v6
	s_delay_alu instid0(VALU_DEP_2) | instskip(SKIP_3) | instid1(VALU_DEP_2)
	v_lshl_or_b32 v2, v2, 9, 0x7c00
	s_wait_alu 0xfffd
	v_cndmask_b32_e64 v6, 0, 1, vcc_lo
	v_cmp_lt_i32_e32 vcc_lo, 5, v11
	v_lshl_or_b32 v6, v6, 9, 0x7c00
	s_or_b32 vcc_lo, s0, vcc_lo
	s_wait_alu 0xfffe
	v_add_co_ci_u32_e32 v9, vcc_lo, 0, v9, vcc_lo
	v_and_b32_e32 v12, 7, v4
	v_lshrrev_b32_e32 v4, 2, v4
	s_delay_alu instid0(VALU_DEP_2) | instskip(SKIP_1) | instid1(VALU_DEP_1)
	v_cmp_lt_i32_e64 s1, 5, v12
	v_cmp_eq_u32_e64 s2, 3, v12
	s_or_b32 vcc_lo, s2, s1
	s_wait_alu 0xfffe
	v_add_co_ci_u32_e32 v4, vcc_lo, 0, v4, vcc_lo
	v_cmp_gt_i32_e32 vcc_lo, 31, v8
	s_wait_alu 0xfffd
	v_cndmask_b32_e32 v9, 0x7c00, v9, vcc_lo
	v_cmp_gt_i32_e32 vcc_lo, 31, v10
	s_wait_alu 0xfffd
	v_cndmask_b32_e32 v4, 0x7c00, v4, vcc_lo
	v_cmp_eq_u32_e32 vcc_lo, 0x40f, v8
	s_wait_alu 0xfffd
	v_cndmask_b32_e32 v2, v9, v2, vcc_lo
	v_cmp_eq_u32_e32 vcc_lo, 0x40f, v10
	s_delay_alu instid0(VALU_DEP_2)
	v_and_or_b32 v2, 0x8000, v5, v2
	s_wait_alu 0xfffd
	v_cndmask_b32_e32 v4, v4, v6, vcc_lo
	v_add_co_u32 v0, vcc_lo, v0, s4
	s_wait_alu 0xfffd
	v_add_co_ci_u32_e32 v1, vcc_lo, s5, v1, vcc_lo
	s_delay_alu instid0(VALU_DEP_3) | instskip(SKIP_1) | instid1(VALU_DEP_1)
	v_and_or_b32 v4, 0x8000, v7, v4
	v_and_b32_e32 v2, 0xffff, v2
	v_lshl_or_b32 v2, v4, 16, v2
	v_lshrrev_b32_e32 v4, 16, v3
	global_store_b32 v[0:1], v2, off
	global_load_b32 v2, v[26:27], off offset:17408
	s_wait_loadcnt 0x0
	v_lshrrev_b32_e32 v5, 16, v2
	s_delay_alu instid0(VALU_DEP_1) | instskip(SKIP_1) | instid1(VALU_DEP_2)
	v_mul_f16_e32 v6, v4, v5
	v_mul_f16_e32 v5, v3, v5
	v_fmac_f16_e32 v6, v3, v2
	s_delay_alu instid0(VALU_DEP_2) | instskip(NEXT) | instid1(VALU_DEP_2)
	v_fma_f16 v2, v2, v4, -v5
	v_cvt_f32_f16_e32 v3, v6
	s_delay_alu instid0(VALU_DEP_2) | instskip(NEXT) | instid1(VALU_DEP_2)
	v_cvt_f32_f16_e32 v4, v2
	v_cvt_f64_f32_e32 v[2:3], v3
	s_delay_alu instid0(VALU_DEP_2) | instskip(NEXT) | instid1(VALU_DEP_2)
	v_cvt_f64_f32_e32 v[4:5], v4
	v_mul_f64_e32 v[2:3], s[10:11], v[2:3]
	s_delay_alu instid0(VALU_DEP_2) | instskip(NEXT) | instid1(VALU_DEP_2)
	v_mul_f64_e32 v[4:5], s[10:11], v[4:5]
	v_and_or_b32 v2, 0x1ff, v3, v2
	s_delay_alu instid0(VALU_DEP_2)
	v_and_or_b32 v4, 0x1ff, v5, v4
	v_lshrrev_b32_e32 v6, 8, v3
	v_bfe_u32 v7, v3, 20, 11
	v_lshrrev_b32_e32 v8, 8, v5
	v_cmp_ne_u32_e32 vcc_lo, 0, v2
	v_bfe_u32 v9, v5, 20, 11
	v_lshrrev_b32_e32 v3, 16, v3
	v_sub_nc_u32_e32 v10, 0x3f1, v7
	v_add_nc_u32_e32 v7, 0xfffffc10, v7
	s_wait_alu 0xfffd
	v_cndmask_b32_e64 v2, 0, 1, vcc_lo
	v_cmp_ne_u32_e32 vcc_lo, 0, v4
	v_lshrrev_b32_e32 v5, 16, v5
	s_delay_alu instid0(VALU_DEP_3) | instskip(SKIP_4) | instid1(VALU_DEP_3)
	v_and_or_b32 v2, 0xffe, v6, v2
	s_wait_alu 0xfffd
	v_cndmask_b32_e64 v4, 0, 1, vcc_lo
	v_sub_nc_u32_e32 v6, 0x3f1, v9
	v_add_nc_u32_e32 v9, 0xfffffc10, v9
	v_and_or_b32 v4, 0xffe, v8, v4
	v_med3_i32 v8, v10, 0, 13
	v_or_b32_e32 v10, 0x1000, v2
	v_med3_i32 v6, v6, 0, 13
	s_delay_alu instid0(VALU_DEP_4) | instskip(NEXT) | instid1(VALU_DEP_3)
	v_or_b32_e32 v11, 0x1000, v4
	v_lshrrev_b32_e32 v12, v8, v10
	s_delay_alu instid0(VALU_DEP_2) | instskip(NEXT) | instid1(VALU_DEP_2)
	v_lshrrev_b32_e32 v13, v6, v11
	v_lshlrev_b32_e32 v8, v8, v12
	s_delay_alu instid0(VALU_DEP_2) | instskip(NEXT) | instid1(VALU_DEP_2)
	v_lshlrev_b32_e32 v6, v6, v13
	v_cmp_ne_u32_e32 vcc_lo, v8, v10
	v_lshl_or_b32 v10, v7, 12, v2
	s_wait_alu 0xfffd
	v_cndmask_b32_e64 v8, 0, 1, vcc_lo
	v_cmp_ne_u32_e32 vcc_lo, v6, v11
	v_lshl_or_b32 v11, v9, 12, v4
	s_delay_alu instid0(VALU_DEP_3) | instskip(SKIP_3) | instid1(VALU_DEP_2)
	v_or_b32_e32 v8, v12, v8
	s_wait_alu 0xfffd
	v_cndmask_b32_e64 v6, 0, 1, vcc_lo
	v_cmp_gt_i32_e32 vcc_lo, 1, v7
	v_or_b32_e32 v6, v13, v6
	s_wait_alu 0xfffd
	v_cndmask_b32_e32 v8, v10, v8, vcc_lo
	v_cmp_gt_i32_e32 vcc_lo, 1, v9
	s_wait_alu 0xfffd
	v_cndmask_b32_e32 v6, v11, v6, vcc_lo
	v_cmp_ne_u32_e32 vcc_lo, 0, v2
	s_delay_alu instid0(VALU_DEP_2)
	v_and_b32_e32 v11, 7, v6
	s_wait_alu 0xfffd
	v_cndmask_b32_e64 v2, 0, 1, vcc_lo
	v_and_b32_e32 v10, 7, v8
	v_cmp_ne_u32_e32 vcc_lo, 0, v4
	v_lshrrev_b32_e32 v8, 2, v8
	v_cmp_lt_i32_e64 s1, 5, v11
	v_cmp_eq_u32_e64 s2, 3, v11
	v_cmp_eq_u32_e64 s0, 3, v10
	s_wait_alu 0xfffd
	v_cndmask_b32_e64 v4, 0, 1, vcc_lo
	v_cmp_lt_i32_e32 vcc_lo, 5, v10
	v_lshrrev_b32_e32 v6, 2, v6
	v_lshl_or_b32 v2, v2, 9, 0x7c00
	s_delay_alu instid0(VALU_DEP_4)
	v_lshl_or_b32 v4, v4, 9, 0x7c00
	s_or_b32 vcc_lo, s0, vcc_lo
	s_wait_alu 0xfffe
	v_add_co_ci_u32_e32 v8, vcc_lo, 0, v8, vcc_lo
	s_or_b32 vcc_lo, s2, s1
	s_wait_alu 0xfffe
	v_add_co_ci_u32_e32 v6, vcc_lo, 0, v6, vcc_lo
	v_cmp_gt_i32_e32 vcc_lo, 31, v7
	s_wait_alu 0xfffd
	v_cndmask_b32_e32 v8, 0x7c00, v8, vcc_lo
	v_cmp_gt_i32_e32 vcc_lo, 31, v9
	s_wait_alu 0xfffd
	v_cndmask_b32_e32 v6, 0x7c00, v6, vcc_lo
	v_cmp_eq_u32_e32 vcc_lo, 0x40f, v7
	s_wait_alu 0xfffd
	v_cndmask_b32_e32 v2, v8, v2, vcc_lo
	v_cmp_eq_u32_e32 vcc_lo, 0x40f, v9
	s_delay_alu instid0(VALU_DEP_2)
	v_and_or_b32 v2, 0x8000, v3, v2
	s_wait_alu 0xfffd
	v_cndmask_b32_e32 v4, v6, v4, vcc_lo
	v_add_co_u32 v0, vcc_lo, v0, s6
	s_wait_alu 0xfffd
	v_add_co_ci_u32_e32 v1, vcc_lo, s7, v1, vcc_lo
	s_delay_alu instid0(VALU_DEP_3) | instskip(SKIP_1) | instid1(VALU_DEP_1)
	v_and_or_b32 v3, 0x8000, v5, v4
	v_and_b32_e32 v2, 0xffff, v2
	v_lshl_or_b32 v2, v3, 16, v2
	global_store_b32 v[0:1], v2, off
	global_load_b32 v4, v[26:27], off offset:26624
	ds_load_2addr_stride64_b32 v[2:3], v55 offset0:104 offset1:140
	s_wait_dscnt 0x0
	v_lshrrev_b32_e32 v5, 16, v2
	s_wait_loadcnt 0x0
	v_lshrrev_b32_e32 v6, 16, v4
	s_delay_alu instid0(VALU_DEP_1) | instskip(SKIP_1) | instid1(VALU_DEP_2)
	v_mul_f16_e32 v7, v5, v6
	v_mul_f16_e32 v6, v2, v6
	v_fmac_f16_e32 v7, v2, v4
	s_delay_alu instid0(VALU_DEP_2) | instskip(NEXT) | instid1(VALU_DEP_2)
	v_fma_f16 v2, v4, v5, -v6
	v_cvt_f32_f16_e32 v4, v7
	s_delay_alu instid0(VALU_DEP_2) | instskip(NEXT) | instid1(VALU_DEP_2)
	v_cvt_f32_f16_e32 v2, v2
	v_cvt_f64_f32_e32 v[4:5], v4
	s_delay_alu instid0(VALU_DEP_2) | instskip(NEXT) | instid1(VALU_DEP_2)
	v_cvt_f64_f32_e32 v[6:7], v2
	v_mul_f64_e32 v[4:5], s[10:11], v[4:5]
	s_delay_alu instid0(VALU_DEP_2) | instskip(NEXT) | instid1(VALU_DEP_2)
	v_mul_f64_e32 v[6:7], s[10:11], v[6:7]
	v_and_or_b32 v2, 0x1ff, v5, v4
	s_delay_alu instid0(VALU_DEP_2)
	v_and_or_b32 v6, 0x1ff, v7, v6
	v_lshrrev_b32_e32 v4, 8, v5
	v_bfe_u32 v8, v5, 20, 11
	v_lshrrev_b32_e32 v9, 8, v7
	v_cmp_ne_u32_e32 vcc_lo, 0, v2
	v_bfe_u32 v10, v7, 20, 11
	v_lshrrev_b32_e32 v5, 16, v5
	v_sub_nc_u32_e32 v11, 0x3f1, v8
	v_add_nc_u32_e32 v8, 0xfffffc10, v8
	s_wait_alu 0xfffd
	v_cndmask_b32_e64 v2, 0, 1, vcc_lo
	v_cmp_ne_u32_e32 vcc_lo, 0, v6
	v_lshrrev_b32_e32 v7, 16, v7
	s_delay_alu instid0(VALU_DEP_3) | instskip(SKIP_4) | instid1(VALU_DEP_3)
	v_and_or_b32 v2, 0xffe, v4, v2
	s_wait_alu 0xfffd
	v_cndmask_b32_e64 v6, 0, 1, vcc_lo
	v_sub_nc_u32_e32 v4, 0x3f1, v10
	v_add_nc_u32_e32 v10, 0xfffffc10, v10
	v_and_or_b32 v6, 0xffe, v9, v6
	v_med3_i32 v9, v11, 0, 13
	v_or_b32_e32 v11, 0x1000, v2
	v_med3_i32 v4, v4, 0, 13
	s_delay_alu instid0(VALU_DEP_4) | instskip(NEXT) | instid1(VALU_DEP_3)
	v_or_b32_e32 v12, 0x1000, v6
	v_lshrrev_b32_e32 v13, v9, v11
	s_delay_alu instid0(VALU_DEP_2) | instskip(NEXT) | instid1(VALU_DEP_2)
	v_lshrrev_b32_e32 v14, v4, v12
	v_lshlrev_b32_e32 v9, v9, v13
	s_delay_alu instid0(VALU_DEP_2) | instskip(NEXT) | instid1(VALU_DEP_2)
	v_lshlrev_b32_e32 v4, v4, v14
	v_cmp_ne_u32_e32 vcc_lo, v9, v11
	v_lshl_or_b32 v11, v8, 12, v2
	s_wait_alu 0xfffd
	v_cndmask_b32_e64 v9, 0, 1, vcc_lo
	v_cmp_ne_u32_e32 vcc_lo, v4, v12
	v_lshl_or_b32 v12, v10, 12, v6
	s_delay_alu instid0(VALU_DEP_3) | instskip(SKIP_3) | instid1(VALU_DEP_2)
	v_or_b32_e32 v9, v13, v9
	s_wait_alu 0xfffd
	v_cndmask_b32_e64 v4, 0, 1, vcc_lo
	v_cmp_gt_i32_e32 vcc_lo, 1, v8
	v_or_b32_e32 v4, v14, v4
	s_wait_alu 0xfffd
	v_cndmask_b32_e32 v9, v11, v9, vcc_lo
	v_cmp_gt_i32_e32 vcc_lo, 1, v10
	s_wait_alu 0xfffd
	s_delay_alu instid0(VALU_DEP_2) | instskip(SKIP_2) | instid1(VALU_DEP_3)
	v_dual_cndmask_b32 v4, v12, v4 :: v_dual_and_b32 v11, 7, v9
	v_cmp_ne_u32_e32 vcc_lo, 0, v2
	v_lshrrev_b32_e32 v9, 2, v9
	v_cmp_eq_u32_e64 s0, 3, v11
	s_delay_alu instid0(VALU_DEP_4)
	v_and_b32_e32 v12, 7, v4
	s_wait_alu 0xfffd
	v_cndmask_b32_e64 v2, 0, 1, vcc_lo
	v_cmp_ne_u32_e32 vcc_lo, 0, v6
	v_lshrrev_b32_e32 v4, 2, v4
	v_cmp_lt_i32_e64 s1, 5, v12
	v_cmp_eq_u32_e64 s2, 3, v12
	s_wait_alu 0xfffd
	v_cndmask_b32_e64 v6, 0, 1, vcc_lo
	v_cmp_lt_i32_e32 vcc_lo, 5, v11
	v_lshl_or_b32 v2, v2, 9, 0x7c00
	s_delay_alu instid0(VALU_DEP_3)
	v_lshl_or_b32 v6, v6, 9, 0x7c00
	s_or_b32 vcc_lo, s0, vcc_lo
	s_wait_alu 0xfffe
	v_add_co_ci_u32_e32 v9, vcc_lo, 0, v9, vcc_lo
	s_or_b32 vcc_lo, s2, s1
	s_wait_alu 0xfffe
	v_add_co_ci_u32_e32 v4, vcc_lo, 0, v4, vcc_lo
	v_cmp_gt_i32_e32 vcc_lo, 31, v8
	s_wait_alu 0xfffd
	v_cndmask_b32_e32 v9, 0x7c00, v9, vcc_lo
	v_cmp_gt_i32_e32 vcc_lo, 31, v10
	s_wait_alu 0xfffd
	v_cndmask_b32_e32 v4, 0x7c00, v4, vcc_lo
	v_cmp_eq_u32_e32 vcc_lo, 0x40f, v8
	s_wait_alu 0xfffd
	v_cndmask_b32_e32 v2, v9, v2, vcc_lo
	v_cmp_eq_u32_e32 vcc_lo, 0x40f, v10
	s_delay_alu instid0(VALU_DEP_2)
	v_and_or_b32 v2, 0x8000, v5, v2
	s_wait_alu 0xfffd
	v_cndmask_b32_e32 v4, v4, v6, vcc_lo
	v_add_co_u32 v0, vcc_lo, v0, s6
	s_wait_alu 0xfffd
	v_add_co_ci_u32_e32 v1, vcc_lo, s7, v1, vcc_lo
	s_delay_alu instid0(VALU_DEP_3) | instskip(SKIP_1) | instid1(VALU_DEP_1)
	v_and_or_b32 v4, 0x8000, v7, v4
	v_and_b32_e32 v2, 0xffff, v2
	v_lshl_or_b32 v2, v4, 16, v2
	v_lshrrev_b32_e32 v4, 16, v3
	global_store_b32 v[0:1], v2, off
	global_load_b32 v2, v[26:27], off offset:35840
	s_wait_loadcnt 0x0
	v_lshrrev_b32_e32 v5, 16, v2
	s_delay_alu instid0(VALU_DEP_1) | instskip(SKIP_1) | instid1(VALU_DEP_2)
	v_mul_f16_e32 v6, v4, v5
	v_mul_f16_e32 v5, v3, v5
	v_fmac_f16_e32 v6, v3, v2
	s_delay_alu instid0(VALU_DEP_2) | instskip(NEXT) | instid1(VALU_DEP_2)
	v_fma_f16 v2, v2, v4, -v5
	v_cvt_f32_f16_e32 v3, v6
	s_delay_alu instid0(VALU_DEP_2) | instskip(NEXT) | instid1(VALU_DEP_2)
	v_cvt_f32_f16_e32 v4, v2
	v_cvt_f64_f32_e32 v[2:3], v3
	s_delay_alu instid0(VALU_DEP_2) | instskip(NEXT) | instid1(VALU_DEP_2)
	v_cvt_f64_f32_e32 v[4:5], v4
	v_mul_f64_e32 v[2:3], s[10:11], v[2:3]
	s_delay_alu instid0(VALU_DEP_2) | instskip(NEXT) | instid1(VALU_DEP_2)
	v_mul_f64_e32 v[4:5], s[10:11], v[4:5]
	v_and_or_b32 v2, 0x1ff, v3, v2
	s_delay_alu instid0(VALU_DEP_2)
	v_and_or_b32 v4, 0x1ff, v5, v4
	v_lshrrev_b32_e32 v6, 8, v3
	v_bfe_u32 v7, v3, 20, 11
	v_lshrrev_b32_e32 v8, 8, v5
	v_cmp_ne_u32_e32 vcc_lo, 0, v2
	v_bfe_u32 v9, v5, 20, 11
	v_lshrrev_b32_e32 v3, 16, v3
	v_sub_nc_u32_e32 v10, 0x3f1, v7
	v_add_nc_u32_e32 v7, 0xfffffc10, v7
	s_wait_alu 0xfffd
	v_cndmask_b32_e64 v2, 0, 1, vcc_lo
	v_cmp_ne_u32_e32 vcc_lo, 0, v4
	v_lshrrev_b32_e32 v5, 16, v5
	s_delay_alu instid0(VALU_DEP_3) | instskip(SKIP_4) | instid1(VALU_DEP_3)
	v_and_or_b32 v2, 0xffe, v6, v2
	s_wait_alu 0xfffd
	v_cndmask_b32_e64 v4, 0, 1, vcc_lo
	v_sub_nc_u32_e32 v6, 0x3f1, v9
	v_add_nc_u32_e32 v9, 0xfffffc10, v9
	v_and_or_b32 v4, 0xffe, v8, v4
	v_med3_i32 v8, v10, 0, 13
	v_or_b32_e32 v10, 0x1000, v2
	v_med3_i32 v6, v6, 0, 13
	s_delay_alu instid0(VALU_DEP_4) | instskip(NEXT) | instid1(VALU_DEP_3)
	v_or_b32_e32 v11, 0x1000, v4
	v_lshrrev_b32_e32 v12, v8, v10
	s_delay_alu instid0(VALU_DEP_2) | instskip(NEXT) | instid1(VALU_DEP_2)
	v_lshrrev_b32_e32 v13, v6, v11
	v_lshlrev_b32_e32 v8, v8, v12
	s_delay_alu instid0(VALU_DEP_2) | instskip(NEXT) | instid1(VALU_DEP_2)
	v_lshlrev_b32_e32 v6, v6, v13
	v_cmp_ne_u32_e32 vcc_lo, v8, v10
	v_lshl_or_b32 v10, v7, 12, v2
	s_wait_alu 0xfffd
	v_cndmask_b32_e64 v8, 0, 1, vcc_lo
	v_cmp_ne_u32_e32 vcc_lo, v6, v11
	v_lshl_or_b32 v11, v9, 12, v4
	s_delay_alu instid0(VALU_DEP_3) | instskip(SKIP_3) | instid1(VALU_DEP_2)
	v_or_b32_e32 v8, v12, v8
	s_wait_alu 0xfffd
	v_cndmask_b32_e64 v6, 0, 1, vcc_lo
	v_cmp_gt_i32_e32 vcc_lo, 1, v7
	v_or_b32_e32 v6, v13, v6
	s_wait_alu 0xfffd
	v_cndmask_b32_e32 v8, v10, v8, vcc_lo
	v_cmp_gt_i32_e32 vcc_lo, 1, v9
	s_delay_alu instid0(VALU_DEP_2)
	v_and_b32_e32 v10, 7, v8
	s_wait_alu 0xfffd
	v_cndmask_b32_e32 v6, v11, v6, vcc_lo
	v_cmp_ne_u32_e32 vcc_lo, 0, v2
	v_lshrrev_b32_e32 v8, 2, v8
	v_cmp_eq_u32_e64 s0, 3, v10
	s_delay_alu instid0(VALU_DEP_4)
	v_and_b32_e32 v11, 7, v6
	s_wait_alu 0xfffd
	v_cndmask_b32_e64 v2, 0, 1, vcc_lo
	v_cmp_ne_u32_e32 vcc_lo, 0, v4
	v_lshrrev_b32_e32 v6, 2, v6
	v_cmp_lt_i32_e64 s1, 5, v11
	v_cmp_eq_u32_e64 s2, 3, v11
	s_wait_alu 0xfffd
	v_cndmask_b32_e64 v4, 0, 1, vcc_lo
	v_cmp_lt_i32_e32 vcc_lo, 5, v10
	v_lshl_or_b32 v2, v2, 9, 0x7c00
	s_delay_alu instid0(VALU_DEP_3)
	v_lshl_or_b32 v4, v4, 9, 0x7c00
	s_or_b32 vcc_lo, s0, vcc_lo
	s_wait_alu 0xfffe
	v_add_co_ci_u32_e32 v8, vcc_lo, 0, v8, vcc_lo
	s_or_b32 vcc_lo, s2, s1
	s_wait_alu 0xfffe
	v_add_co_ci_u32_e32 v6, vcc_lo, 0, v6, vcc_lo
	v_cmp_gt_i32_e32 vcc_lo, 31, v7
	s_wait_alu 0xfffd
	v_cndmask_b32_e32 v8, 0x7c00, v8, vcc_lo
	v_cmp_gt_i32_e32 vcc_lo, 31, v9
	s_wait_alu 0xfffd
	v_cndmask_b32_e32 v6, 0x7c00, v6, vcc_lo
	v_cmp_eq_u32_e32 vcc_lo, 0x40f, v7
	s_wait_alu 0xfffd
	v_cndmask_b32_e32 v2, v8, v2, vcc_lo
	v_cmp_eq_u32_e32 vcc_lo, 0x40f, v9
	s_delay_alu instid0(VALU_DEP_2)
	v_and_or_b32 v2, 0x8000, v3, v2
	s_wait_alu 0xfffd
	v_cndmask_b32_e32 v4, v6, v4, vcc_lo
	v_add_co_u32 v0, vcc_lo, v0, s6
	s_wait_alu 0xfffd
	v_add_co_ci_u32_e32 v1, vcc_lo, s7, v1, vcc_lo
	s_delay_alu instid0(VALU_DEP_3) | instskip(SKIP_1) | instid1(VALU_DEP_1)
	v_and_or_b32 v3, 0x8000, v5, v4
	v_and_b32_e32 v2, 0xffff, v2
	v_lshl_or_b32 v2, v3, 16, v2
	global_store_b32 v[0:1], v2, off
.LBB0_39:
	s_nop 0
	s_sendmsg sendmsg(MSG_DEALLOC_VGPRS)
	s_endpgm
	.section	.rodata,"a",@progbits
	.p2align	6, 0x0
	.amdhsa_kernel bluestein_single_fwd_len9216_dim1_half_op_CI_CI
		.amdhsa_group_segment_fixed_size 36864
		.amdhsa_private_segment_fixed_size 0
		.amdhsa_kernarg_size 104
		.amdhsa_user_sgpr_count 2
		.amdhsa_user_sgpr_dispatch_ptr 0
		.amdhsa_user_sgpr_queue_ptr 0
		.amdhsa_user_sgpr_kernarg_segment_ptr 1
		.amdhsa_user_sgpr_dispatch_id 0
		.amdhsa_user_sgpr_private_segment_size 0
		.amdhsa_wavefront_size32 1
		.amdhsa_uses_dynamic_stack 0
		.amdhsa_enable_private_segment 0
		.amdhsa_system_sgpr_workgroup_id_x 1
		.amdhsa_system_sgpr_workgroup_id_y 0
		.amdhsa_system_sgpr_workgroup_id_z 0
		.amdhsa_system_sgpr_workgroup_info 0
		.amdhsa_system_vgpr_workitem_id 0
		.amdhsa_next_free_vgpr 213
		.amdhsa_next_free_sgpr 16
		.amdhsa_reserve_vcc 1
		.amdhsa_float_round_mode_32 0
		.amdhsa_float_round_mode_16_64 0
		.amdhsa_float_denorm_mode_32 3
		.amdhsa_float_denorm_mode_16_64 3
		.amdhsa_fp16_overflow 0
		.amdhsa_workgroup_processor_mode 1
		.amdhsa_memory_ordered 1
		.amdhsa_forward_progress 0
		.amdhsa_round_robin_scheduling 0
		.amdhsa_exception_fp_ieee_invalid_op 0
		.amdhsa_exception_fp_denorm_src 0
		.amdhsa_exception_fp_ieee_div_zero 0
		.amdhsa_exception_fp_ieee_overflow 0
		.amdhsa_exception_fp_ieee_underflow 0
		.amdhsa_exception_fp_ieee_inexact 0
		.amdhsa_exception_int_div_zero 0
	.end_amdhsa_kernel
	.text
.Lfunc_end0:
	.size	bluestein_single_fwd_len9216_dim1_half_op_CI_CI, .Lfunc_end0-bluestein_single_fwd_len9216_dim1_half_op_CI_CI
                                        ; -- End function
	.section	.AMDGPU.csdata,"",@progbits
; Kernel info:
; codeLenInByte = 36692
; NumSgprs: 18
; NumVgprs: 213
; ScratchSize: 0
; MemoryBound: 0
; FloatMode: 240
; IeeeMode: 1
; LDSByteSize: 36864 bytes/workgroup (compile time only)
; SGPRBlocks: 2
; VGPRBlocks: 26
; NumSGPRsForWavesPerEU: 18
; NumVGPRsForWavesPerEU: 213
; Occupancy: 7
; WaveLimiterHint : 1
; COMPUTE_PGM_RSRC2:SCRATCH_EN: 0
; COMPUTE_PGM_RSRC2:USER_SGPR: 2
; COMPUTE_PGM_RSRC2:TRAP_HANDLER: 0
; COMPUTE_PGM_RSRC2:TGID_X_EN: 1
; COMPUTE_PGM_RSRC2:TGID_Y_EN: 0
; COMPUTE_PGM_RSRC2:TGID_Z_EN: 0
; COMPUTE_PGM_RSRC2:TIDIG_COMP_CNT: 0
	.text
	.p2alignl 7, 3214868480
	.fill 96, 4, 3214868480
	.type	__hip_cuid_1e6817140f10e540,@object ; @__hip_cuid_1e6817140f10e540
	.section	.bss,"aw",@nobits
	.globl	__hip_cuid_1e6817140f10e540
__hip_cuid_1e6817140f10e540:
	.byte	0                               ; 0x0
	.size	__hip_cuid_1e6817140f10e540, 1

	.ident	"AMD clang version 19.0.0git (https://github.com/RadeonOpenCompute/llvm-project roc-6.4.0 25133 c7fe45cf4b819c5991fe208aaa96edf142730f1d)"
	.section	".note.GNU-stack","",@progbits
	.addrsig
	.addrsig_sym __hip_cuid_1e6817140f10e540
	.amdgpu_metadata
---
amdhsa.kernels:
  - .args:
      - .actual_access:  read_only
        .address_space:  global
        .offset:         0
        .size:           8
        .value_kind:     global_buffer
      - .actual_access:  read_only
        .address_space:  global
        .offset:         8
        .size:           8
        .value_kind:     global_buffer
      - .actual_access:  read_only
        .address_space:  global
        .offset:         16
        .size:           8
        .value_kind:     global_buffer
      - .actual_access:  read_only
        .address_space:  global
        .offset:         24
        .size:           8
        .value_kind:     global_buffer
      - .actual_access:  read_only
        .address_space:  global
        .offset:         32
        .size:           8
        .value_kind:     global_buffer
      - .offset:         40
        .size:           8
        .value_kind:     by_value
      - .address_space:  global
        .offset:         48
        .size:           8
        .value_kind:     global_buffer
      - .address_space:  global
        .offset:         56
        .size:           8
        .value_kind:     global_buffer
      - .address_space:  global
        .offset:         64
        .size:           8
        .value_kind:     global_buffer
      - .address_space:  global
        .offset:         72
        .size:           8
        .value_kind:     global_buffer
      - .offset:         80
        .size:           4
        .value_kind:     by_value
      - .address_space:  global
        .offset:         88
        .size:           8
        .value_kind:     global_buffer
      - .address_space:  global
        .offset:         96
        .size:           8
        .value_kind:     global_buffer
    .group_segment_fixed_size: 36864
    .kernarg_segment_align: 8
    .kernarg_segment_size: 104
    .language:       OpenCL C
    .language_version:
      - 2
      - 0
    .max_flat_workgroup_size: 512
    .name:           bluestein_single_fwd_len9216_dim1_half_op_CI_CI
    .private_segment_fixed_size: 0
    .sgpr_count:     18
    .sgpr_spill_count: 0
    .symbol:         bluestein_single_fwd_len9216_dim1_half_op_CI_CI.kd
    .uniform_work_group_size: 1
    .uses_dynamic_stack: false
    .vgpr_count:     213
    .vgpr_spill_count: 0
    .wavefront_size: 32
    .workgroup_processor_mode: 1
amdhsa.target:   amdgcn-amd-amdhsa--gfx1201
amdhsa.version:
  - 1
  - 2
...

	.end_amdgpu_metadata
